;; amdgpu-corpus repo=ROCm/rocPRIM kind=compiled arch=gfx90a opt=O3
	.text
	.amdgcn_target "amdgcn-amd-amdhsa--gfx90a"
	.amdhsa_code_object_version 6
	.section	.text._Z18warp_reduce_kernelILb0EiLj32ELj100EEvPKT0_PS0_,"axG",@progbits,_Z18warp_reduce_kernelILb0EiLj32ELj100EEvPKT0_PS0_,comdat
	.protected	_Z18warp_reduce_kernelILb0EiLj32ELj100EEvPKT0_PS0_ ; -- Begin function _Z18warp_reduce_kernelILb0EiLj32ELj100EEvPKT0_PS0_
	.globl	_Z18warp_reduce_kernelILb0EiLj32ELj100EEvPKT0_PS0_
	.p2align	8
	.type	_Z18warp_reduce_kernelILb0EiLj32ELj100EEvPKT0_PS0_,@function
_Z18warp_reduce_kernelILb0EiLj32ELj100EEvPKT0_PS0_: ; @_Z18warp_reduce_kernelILb0EiLj32ELj100EEvPKT0_PS0_
; %bb.0:
	s_load_dword s7, s[4:5], 0x1c
	s_load_dwordx4 s[0:3], s[4:5], 0x0
	v_mov_b32_e32 v1, 0
	s_waitcnt lgkmcnt(0)
	s_and_b32 s4, s7, 0xffff
	s_mul_i32 s6, s6, s4
	v_add_u32_e32 v0, s6, v0
	v_lshlrev_b64 v[0:1], 2, v[0:1]
	v_mov_b32_e32 v3, s1
	v_add_co_u32_e32 v2, vcc, s0, v0
	v_addc_co_u32_e32 v3, vcc, v3, v1, vcc
	global_load_dword v2, v[2:3], off
	v_mbcnt_lo_u32_b32 v3, -1, 0
	v_mbcnt_hi_u32_b32 v7, -1, v3
	v_and_b32_e32 v8, 31, v7
	v_cmp_ne_u32_e32 vcc, 31, v8
	v_addc_co_u32_e32 v3, vcc, 0, v7, vcc
	v_cmp_gt_u32_e32 vcc, 30, v8
	v_cndmask_b32_e64 v4, 0, 1, vcc
	v_cmp_gt_u32_e32 vcc, 28, v8
	v_cndmask_b32_e64 v5, 0, 1, vcc
	;; [unrolled: 2-line block ×4, first 2 shown]
	v_lshlrev_b32_e32 v4, 1, v4
	v_lshlrev_b32_e32 v5, 2, v5
	;; [unrolled: 1-line block ×5, first 2 shown]
	v_add_lshl_u32 v4, v4, v7, 2
	v_add_lshl_u32 v5, v5, v7, 2
	;; [unrolled: 1-line block ×4, first 2 shown]
	s_movk_i32 s0, 0x64
.LBB0_1:                                ; =>This Inner Loop Header: Depth=1
	s_waitcnt vmcnt(0)
	ds_bpermute_b32 v8, v3, v2
	s_add_i32 s0, s0, -1
	s_cmp_eq_u32 s0, 0
	s_waitcnt lgkmcnt(0)
	v_add_u32_e32 v2, v8, v2
	ds_bpermute_b32 v8, v4, v2
	s_waitcnt lgkmcnt(0)
	v_add_u32_e32 v2, v8, v2
	ds_bpermute_b32 v8, v5, v2
	;; [unrolled: 3-line block ×4, first 2 shown]
	s_waitcnt lgkmcnt(0)
	v_add_u32_e32 v2, v8, v2
	s_cbranch_scc0 .LBB0_1
; %bb.2:
	v_mov_b32_e32 v3, s3
	v_add_co_u32_e32 v0, vcc, s2, v0
	v_addc_co_u32_e32 v1, vcc, v3, v1, vcc
	global_store_dword v[0:1], v2, off
	s_endpgm
	.section	.rodata,"a",@progbits
	.p2align	6, 0x0
	.amdhsa_kernel _Z18warp_reduce_kernelILb0EiLj32ELj100EEvPKT0_PS0_
		.amdhsa_group_segment_fixed_size 0
		.amdhsa_private_segment_fixed_size 0
		.amdhsa_kernarg_size 272
		.amdhsa_user_sgpr_count 6
		.amdhsa_user_sgpr_private_segment_buffer 1
		.amdhsa_user_sgpr_dispatch_ptr 0
		.amdhsa_user_sgpr_queue_ptr 0
		.amdhsa_user_sgpr_kernarg_segment_ptr 1
		.amdhsa_user_sgpr_dispatch_id 0
		.amdhsa_user_sgpr_flat_scratch_init 0
		.amdhsa_user_sgpr_kernarg_preload_length 0
		.amdhsa_user_sgpr_kernarg_preload_offset 0
		.amdhsa_user_sgpr_private_segment_size 0
		.amdhsa_uses_dynamic_stack 0
		.amdhsa_system_sgpr_private_segment_wavefront_offset 0
		.amdhsa_system_sgpr_workgroup_id_x 1
		.amdhsa_system_sgpr_workgroup_id_y 0
		.amdhsa_system_sgpr_workgroup_id_z 0
		.amdhsa_system_sgpr_workgroup_info 0
		.amdhsa_system_vgpr_workitem_id 0
		.amdhsa_next_free_vgpr 9
		.amdhsa_next_free_sgpr 8
		.amdhsa_accum_offset 12
		.amdhsa_reserve_vcc 1
		.amdhsa_reserve_flat_scratch 0
		.amdhsa_float_round_mode_32 0
		.amdhsa_float_round_mode_16_64 0
		.amdhsa_float_denorm_mode_32 3
		.amdhsa_float_denorm_mode_16_64 3
		.amdhsa_dx10_clamp 1
		.amdhsa_ieee_mode 1
		.amdhsa_fp16_overflow 0
		.amdhsa_tg_split 0
		.amdhsa_exception_fp_ieee_invalid_op 0
		.amdhsa_exception_fp_denorm_src 0
		.amdhsa_exception_fp_ieee_div_zero 0
		.amdhsa_exception_fp_ieee_overflow 0
		.amdhsa_exception_fp_ieee_underflow 0
		.amdhsa_exception_fp_ieee_inexact 0
		.amdhsa_exception_int_div_zero 0
	.end_amdhsa_kernel
	.section	.text._Z18warp_reduce_kernelILb0EiLj32ELj100EEvPKT0_PS0_,"axG",@progbits,_Z18warp_reduce_kernelILb0EiLj32ELj100EEvPKT0_PS0_,comdat
.Lfunc_end0:
	.size	_Z18warp_reduce_kernelILb0EiLj32ELj100EEvPKT0_PS0_, .Lfunc_end0-_Z18warp_reduce_kernelILb0EiLj32ELj100EEvPKT0_PS0_
                                        ; -- End function
	.section	.AMDGPU.csdata,"",@progbits
; Kernel info:
; codeLenInByte = 320
; NumSgprs: 12
; NumVgprs: 9
; NumAgprs: 0
; TotalNumVgprs: 9
; ScratchSize: 0
; MemoryBound: 0
; FloatMode: 240
; IeeeMode: 1
; LDSByteSize: 0 bytes/workgroup (compile time only)
; SGPRBlocks: 1
; VGPRBlocks: 1
; NumSGPRsForWavesPerEU: 12
; NumVGPRsForWavesPerEU: 9
; AccumOffset: 12
; Occupancy: 8
; WaveLimiterHint : 0
; COMPUTE_PGM_RSRC2:SCRATCH_EN: 0
; COMPUTE_PGM_RSRC2:USER_SGPR: 6
; COMPUTE_PGM_RSRC2:TRAP_HANDLER: 0
; COMPUTE_PGM_RSRC2:TGID_X_EN: 1
; COMPUTE_PGM_RSRC2:TGID_Y_EN: 0
; COMPUTE_PGM_RSRC2:TGID_Z_EN: 0
; COMPUTE_PGM_RSRC2:TIDIG_COMP_CNT: 0
; COMPUTE_PGM_RSRC3_GFX90A:ACCUM_OFFSET: 2
; COMPUTE_PGM_RSRC3_GFX90A:TG_SPLIT: 0
	.section	.text._Z18warp_reduce_kernelILb0EiLj37ELj100EEvPKT0_PS0_,"axG",@progbits,_Z18warp_reduce_kernelILb0EiLj37ELj100EEvPKT0_PS0_,comdat
	.protected	_Z18warp_reduce_kernelILb0EiLj37ELj100EEvPKT0_PS0_ ; -- Begin function _Z18warp_reduce_kernelILb0EiLj37ELj100EEvPKT0_PS0_
	.globl	_Z18warp_reduce_kernelILb0EiLj37ELj100EEvPKT0_PS0_
	.p2align	8
	.type	_Z18warp_reduce_kernelILb0EiLj37ELj100EEvPKT0_PS0_,@function
_Z18warp_reduce_kernelILb0EiLj37ELj100EEvPKT0_PS0_: ; @_Z18warp_reduce_kernelILb0EiLj37ELj100EEvPKT0_PS0_
; %bb.0:
	s_load_dword s0, s[4:5], 0x1c
	s_load_dwordx4 s[8:11], s[4:5], 0x0
	v_mov_b32_e32 v1, 0
	s_movk_i32 s14, 0x64
	s_waitcnt lgkmcnt(0)
	s_and_b32 s0, s0, 0xffff
	s_mul_i32 s6, s6, s0
	v_add_u32_e32 v0, s6, v0
	v_lshlrev_b64 v[2:3], 2, v[0:1]
	v_mov_b32_e32 v0, s9
	v_add_co_u32_e32 v4, vcc, s8, v2
	v_addc_co_u32_e32 v5, vcc, v0, v3, vcc
	global_load_dword v0, v[4:5], off
	v_mbcnt_lo_u32_b32 v4, -1, 0
	v_mbcnt_hi_u32_b32 v4, -1, v4
	s_mov_b32 s0, 0x6eb3e46
	v_mul_hi_u32 v5, v4, s0
	v_mul_u32_u24_e32 v5, 37, v5
	v_sub_u32_e32 v5, v4, v5
	v_lshlrev_b32_e32 v4, 2, v5
	v_cmp_gt_u32_e32 vcc, 5, v5
	v_cmp_gt_u32_e64 s[0:1], 16, v5
	v_cmp_gt_u32_e64 s[2:3], 8, v5
	;; [unrolled: 1-line block ×4, first 2 shown]
	v_cmp_eq_u32_e64 s[8:9], 0, v5
	s_branch .LBB1_2
.LBB1_1:                                ;   in Loop: Header=BB1_2 Depth=1
	s_or_b64 exec, exec, s[12:13]
	s_add_i32 s14, s14, -1
	s_cmp_eq_u32 s14, 0
	; wave barrier
	s_cbranch_scc1 .LBB1_26
.LBB1_2:                                ; =>This Inner Loop Header: Depth=1
	s_waitcnt vmcnt(0)
	ds_write_b32 v4, v0
	; wave barrier
	s_and_saveexec_b64 s[12:13], vcc
	s_cbranch_execz .LBB1_4
; %bb.3:                                ;   in Loop: Header=BB1_2 Depth=1
	ds_read2_b32 v[6:7], v4 offset1:32
	s_waitcnt lgkmcnt(0)
	v_add_u32_e32 v0, v7, v6
.LBB1_4:                                ;   in Loop: Header=BB1_2 Depth=1
	s_or_b64 exec, exec, s[12:13]
	; wave barrier
	s_and_saveexec_b64 s[12:13], vcc
	s_cbranch_execz .LBB1_6
; %bb.5:                                ;   in Loop: Header=BB1_2 Depth=1
	ds_write_b32 v4, v0
.LBB1_6:                                ;   in Loop: Header=BB1_2 Depth=1
	s_or_b64 exec, exec, s[12:13]
	; wave barrier
	s_and_saveexec_b64 s[12:13], s[0:1]
	s_cbranch_execz .LBB1_8
; %bb.7:                                ;   in Loop: Header=BB1_2 Depth=1
	ds_read2_b32 v[6:7], v4 offset1:16
	s_waitcnt lgkmcnt(0)
	v_add_u32_e32 v0, v7, v6
.LBB1_8:                                ;   in Loop: Header=BB1_2 Depth=1
	s_or_b64 exec, exec, s[12:13]
	; wave barrier
	s_and_saveexec_b64 s[12:13], s[0:1]
	s_cbranch_execz .LBB1_10
; %bb.9:                                ;   in Loop: Header=BB1_2 Depth=1
	ds_write_b32 v4, v0
.LBB1_10:                               ;   in Loop: Header=BB1_2 Depth=1
	s_or_b64 exec, exec, s[12:13]
	; wave barrier
	s_and_saveexec_b64 s[12:13], s[2:3]
	s_cbranch_execz .LBB1_12
; %bb.11:                               ;   in Loop: Header=BB1_2 Depth=1
	ds_read2_b32 v[6:7], v4 offset1:8
	s_waitcnt lgkmcnt(0)
	v_add_u32_e32 v0, v7, v6
.LBB1_12:                               ;   in Loop: Header=BB1_2 Depth=1
	s_or_b64 exec, exec, s[12:13]
	; wave barrier
	s_and_saveexec_b64 s[12:13], s[2:3]
	s_cbranch_execz .LBB1_14
; %bb.13:                               ;   in Loop: Header=BB1_2 Depth=1
	ds_write_b32 v4, v0
.LBB1_14:                               ;   in Loop: Header=BB1_2 Depth=1
	s_or_b64 exec, exec, s[12:13]
	; wave barrier
	s_and_saveexec_b64 s[12:13], s[4:5]
	s_cbranch_execz .LBB1_16
; %bb.15:                               ;   in Loop: Header=BB1_2 Depth=1
	ds_read2_b32 v[6:7], v4 offset1:4
	s_waitcnt lgkmcnt(0)
	v_add_u32_e32 v0, v7, v6
.LBB1_16:                               ;   in Loop: Header=BB1_2 Depth=1
	s_or_b64 exec, exec, s[12:13]
	; wave barrier
	s_and_saveexec_b64 s[12:13], s[4:5]
	s_cbranch_execz .LBB1_18
; %bb.17:                               ;   in Loop: Header=BB1_2 Depth=1
	ds_write_b32 v4, v0
.LBB1_18:                               ;   in Loop: Header=BB1_2 Depth=1
	;; [unrolled: 16-line block ×3, first 2 shown]
	s_or_b64 exec, exec, s[12:13]
	; wave barrier
	s_and_saveexec_b64 s[12:13], s[8:9]
	s_cbranch_execz .LBB1_24
; %bb.23:                               ;   in Loop: Header=BB1_2 Depth=1
	ds_read_b32 v0, v4
	ds_read_b32 v5, v1 offset:4
	s_waitcnt lgkmcnt(0)
	v_add_u32_e32 v0, v5, v0
.LBB1_24:                               ;   in Loop: Header=BB1_2 Depth=1
	s_or_b64 exec, exec, s[12:13]
	; wave barrier
	s_and_saveexec_b64 s[12:13], s[8:9]
	s_cbranch_execz .LBB1_1
; %bb.25:                               ;   in Loop: Header=BB1_2 Depth=1
	ds_write_b32 v4, v0
	s_branch .LBB1_1
.LBB1_26:
	v_mov_b32_e32 v1, s11
	v_add_co_u32_e32 v2, vcc, s10, v2
	v_addc_co_u32_e32 v3, vcc, v1, v3, vcc
	global_store_dword v[2:3], v0, off
	s_endpgm
	.section	.rodata,"a",@progbits
	.p2align	6, 0x0
	.amdhsa_kernel _Z18warp_reduce_kernelILb0EiLj37ELj100EEvPKT0_PS0_
		.amdhsa_group_segment_fixed_size 148
		.amdhsa_private_segment_fixed_size 0
		.amdhsa_kernarg_size 272
		.amdhsa_user_sgpr_count 6
		.amdhsa_user_sgpr_private_segment_buffer 1
		.amdhsa_user_sgpr_dispatch_ptr 0
		.amdhsa_user_sgpr_queue_ptr 0
		.amdhsa_user_sgpr_kernarg_segment_ptr 1
		.amdhsa_user_sgpr_dispatch_id 0
		.amdhsa_user_sgpr_flat_scratch_init 0
		.amdhsa_user_sgpr_kernarg_preload_length 0
		.amdhsa_user_sgpr_kernarg_preload_offset 0
		.amdhsa_user_sgpr_private_segment_size 0
		.amdhsa_uses_dynamic_stack 0
		.amdhsa_system_sgpr_private_segment_wavefront_offset 0
		.amdhsa_system_sgpr_workgroup_id_x 1
		.amdhsa_system_sgpr_workgroup_id_y 0
		.amdhsa_system_sgpr_workgroup_id_z 0
		.amdhsa_system_sgpr_workgroup_info 0
		.amdhsa_system_vgpr_workitem_id 0
		.amdhsa_next_free_vgpr 8
		.amdhsa_next_free_sgpr 15
		.amdhsa_accum_offset 8
		.amdhsa_reserve_vcc 1
		.amdhsa_reserve_flat_scratch 0
		.amdhsa_float_round_mode_32 0
		.amdhsa_float_round_mode_16_64 0
		.amdhsa_float_denorm_mode_32 3
		.amdhsa_float_denorm_mode_16_64 3
		.amdhsa_dx10_clamp 1
		.amdhsa_ieee_mode 1
		.amdhsa_fp16_overflow 0
		.amdhsa_tg_split 0
		.amdhsa_exception_fp_ieee_invalid_op 0
		.amdhsa_exception_fp_denorm_src 0
		.amdhsa_exception_fp_ieee_div_zero 0
		.amdhsa_exception_fp_ieee_overflow 0
		.amdhsa_exception_fp_ieee_underflow 0
		.amdhsa_exception_fp_ieee_inexact 0
		.amdhsa_exception_int_div_zero 0
	.end_amdhsa_kernel
	.section	.text._Z18warp_reduce_kernelILb0EiLj37ELj100EEvPKT0_PS0_,"axG",@progbits,_Z18warp_reduce_kernelILb0EiLj37ELj100EEvPKT0_PS0_,comdat
.Lfunc_end1:
	.size	_Z18warp_reduce_kernelILb0EiLj37ELj100EEvPKT0_PS0_, .Lfunc_end1-_Z18warp_reduce_kernelILb0EiLj37ELj100EEvPKT0_PS0_
                                        ; -- End function
	.section	.AMDGPU.csdata,"",@progbits
; Kernel info:
; codeLenInByte = 512
; NumSgprs: 19
; NumVgprs: 8
; NumAgprs: 0
; TotalNumVgprs: 8
; ScratchSize: 0
; MemoryBound: 0
; FloatMode: 240
; IeeeMode: 1
; LDSByteSize: 148 bytes/workgroup (compile time only)
; SGPRBlocks: 2
; VGPRBlocks: 0
; NumSGPRsForWavesPerEU: 19
; NumVGPRsForWavesPerEU: 8
; AccumOffset: 8
; Occupancy: 8
; WaveLimiterHint : 0
; COMPUTE_PGM_RSRC2:SCRATCH_EN: 0
; COMPUTE_PGM_RSRC2:USER_SGPR: 6
; COMPUTE_PGM_RSRC2:TRAP_HANDLER: 0
; COMPUTE_PGM_RSRC2:TGID_X_EN: 1
; COMPUTE_PGM_RSRC2:TGID_Y_EN: 0
; COMPUTE_PGM_RSRC2:TGID_Z_EN: 0
; COMPUTE_PGM_RSRC2:TIDIG_COMP_CNT: 0
; COMPUTE_PGM_RSRC3_GFX90A:ACCUM_OFFSET: 1
; COMPUTE_PGM_RSRC3_GFX90A:TG_SPLIT: 0
	.section	.text._Z18warp_reduce_kernelILb0EiLj61ELj100EEvPKT0_PS0_,"axG",@progbits,_Z18warp_reduce_kernelILb0EiLj61ELj100EEvPKT0_PS0_,comdat
	.protected	_Z18warp_reduce_kernelILb0EiLj61ELj100EEvPKT0_PS0_ ; -- Begin function _Z18warp_reduce_kernelILb0EiLj61ELj100EEvPKT0_PS0_
	.globl	_Z18warp_reduce_kernelILb0EiLj61ELj100EEvPKT0_PS0_
	.p2align	8
	.type	_Z18warp_reduce_kernelILb0EiLj61ELj100EEvPKT0_PS0_,@function
_Z18warp_reduce_kernelILb0EiLj61ELj100EEvPKT0_PS0_: ; @_Z18warp_reduce_kernelILb0EiLj61ELj100EEvPKT0_PS0_
; %bb.0:
	s_load_dword s0, s[4:5], 0x1c
	s_load_dwordx4 s[8:11], s[4:5], 0x0
	v_mov_b32_e32 v1, 0
	s_movk_i32 s14, 0x64
	s_waitcnt lgkmcnt(0)
	s_and_b32 s0, s0, 0xffff
	s_mul_i32 s6, s6, s0
	v_add_u32_e32 v0, s6, v0
	v_lshlrev_b64 v[2:3], 2, v[0:1]
	v_mov_b32_e32 v0, s9
	v_add_co_u32_e32 v4, vcc, s8, v2
	v_addc_co_u32_e32 v5, vcc, v0, v3, vcc
	global_load_dword v0, v[4:5], off
	v_mbcnt_lo_u32_b32 v4, -1, 0
	v_mbcnt_hi_u32_b32 v4, -1, v4
	s_mov_b32 s0, 0x4325c54
	v_mul_hi_u32 v5, v4, s0
	v_mul_u32_u24_e32 v5, 61, v5
	v_sub_u32_e32 v5, v4, v5
	v_lshlrev_b32_e32 v4, 2, v5
	v_cmp_gt_u32_e32 vcc, 29, v5
	v_cmp_gt_u32_e64 s[0:1], 16, v5
	v_cmp_gt_u32_e64 s[2:3], 8, v5
	v_cmp_gt_u32_e64 s[4:5], 4, v5
	v_cmp_gt_u32_e64 s[6:7], 2, v5
	v_cmp_eq_u32_e64 s[8:9], 0, v5
	s_branch .LBB2_2
.LBB2_1:                                ;   in Loop: Header=BB2_2 Depth=1
	s_or_b64 exec, exec, s[12:13]
	s_add_i32 s14, s14, -1
	s_cmp_eq_u32 s14, 0
	; wave barrier
	s_cbranch_scc1 .LBB2_26
.LBB2_2:                                ; =>This Inner Loop Header: Depth=1
	s_waitcnt vmcnt(0)
	ds_write_b32 v4, v0
	; wave barrier
	s_and_saveexec_b64 s[12:13], vcc
	s_cbranch_execz .LBB2_4
; %bb.3:                                ;   in Loop: Header=BB2_2 Depth=1
	ds_read2_b32 v[6:7], v4 offset1:32
	s_waitcnt lgkmcnt(0)
	v_add_u32_e32 v0, v7, v6
.LBB2_4:                                ;   in Loop: Header=BB2_2 Depth=1
	s_or_b64 exec, exec, s[12:13]
	; wave barrier
	s_and_saveexec_b64 s[12:13], vcc
	s_cbranch_execz .LBB2_6
; %bb.5:                                ;   in Loop: Header=BB2_2 Depth=1
	ds_write_b32 v4, v0
.LBB2_6:                                ;   in Loop: Header=BB2_2 Depth=1
	s_or_b64 exec, exec, s[12:13]
	; wave barrier
	s_and_saveexec_b64 s[12:13], s[0:1]
	s_cbranch_execz .LBB2_8
; %bb.7:                                ;   in Loop: Header=BB2_2 Depth=1
	ds_read2_b32 v[6:7], v4 offset1:16
	s_waitcnt lgkmcnt(0)
	v_add_u32_e32 v0, v7, v6
.LBB2_8:                                ;   in Loop: Header=BB2_2 Depth=1
	s_or_b64 exec, exec, s[12:13]
	; wave barrier
	s_and_saveexec_b64 s[12:13], s[0:1]
	s_cbranch_execz .LBB2_10
; %bb.9:                                ;   in Loop: Header=BB2_2 Depth=1
	ds_write_b32 v4, v0
.LBB2_10:                               ;   in Loop: Header=BB2_2 Depth=1
	s_or_b64 exec, exec, s[12:13]
	; wave barrier
	s_and_saveexec_b64 s[12:13], s[2:3]
	s_cbranch_execz .LBB2_12
; %bb.11:                               ;   in Loop: Header=BB2_2 Depth=1
	ds_read2_b32 v[6:7], v4 offset1:8
	s_waitcnt lgkmcnt(0)
	v_add_u32_e32 v0, v7, v6
.LBB2_12:                               ;   in Loop: Header=BB2_2 Depth=1
	s_or_b64 exec, exec, s[12:13]
	; wave barrier
	s_and_saveexec_b64 s[12:13], s[2:3]
	s_cbranch_execz .LBB2_14
; %bb.13:                               ;   in Loop: Header=BB2_2 Depth=1
	ds_write_b32 v4, v0
.LBB2_14:                               ;   in Loop: Header=BB2_2 Depth=1
	s_or_b64 exec, exec, s[12:13]
	; wave barrier
	s_and_saveexec_b64 s[12:13], s[4:5]
	s_cbranch_execz .LBB2_16
; %bb.15:                               ;   in Loop: Header=BB2_2 Depth=1
	ds_read2_b32 v[6:7], v4 offset1:4
	s_waitcnt lgkmcnt(0)
	v_add_u32_e32 v0, v7, v6
.LBB2_16:                               ;   in Loop: Header=BB2_2 Depth=1
	s_or_b64 exec, exec, s[12:13]
	; wave barrier
	s_and_saveexec_b64 s[12:13], s[4:5]
	s_cbranch_execz .LBB2_18
; %bb.17:                               ;   in Loop: Header=BB2_2 Depth=1
	ds_write_b32 v4, v0
.LBB2_18:                               ;   in Loop: Header=BB2_2 Depth=1
	;; [unrolled: 16-line block ×3, first 2 shown]
	s_or_b64 exec, exec, s[12:13]
	; wave barrier
	s_and_saveexec_b64 s[12:13], s[8:9]
	s_cbranch_execz .LBB2_24
; %bb.23:                               ;   in Loop: Header=BB2_2 Depth=1
	ds_read_b32 v0, v4
	ds_read_b32 v5, v1 offset:4
	s_waitcnt lgkmcnt(0)
	v_add_u32_e32 v0, v5, v0
.LBB2_24:                               ;   in Loop: Header=BB2_2 Depth=1
	s_or_b64 exec, exec, s[12:13]
	; wave barrier
	s_and_saveexec_b64 s[12:13], s[8:9]
	s_cbranch_execz .LBB2_1
; %bb.25:                               ;   in Loop: Header=BB2_2 Depth=1
	ds_write_b32 v4, v0
	s_branch .LBB2_1
.LBB2_26:
	v_mov_b32_e32 v1, s11
	v_add_co_u32_e32 v2, vcc, s10, v2
	v_addc_co_u32_e32 v3, vcc, v1, v3, vcc
	global_store_dword v[2:3], v0, off
	s_endpgm
	.section	.rodata,"a",@progbits
	.p2align	6, 0x0
	.amdhsa_kernel _Z18warp_reduce_kernelILb0EiLj61ELj100EEvPKT0_PS0_
		.amdhsa_group_segment_fixed_size 244
		.amdhsa_private_segment_fixed_size 0
		.amdhsa_kernarg_size 272
		.amdhsa_user_sgpr_count 6
		.amdhsa_user_sgpr_private_segment_buffer 1
		.amdhsa_user_sgpr_dispatch_ptr 0
		.amdhsa_user_sgpr_queue_ptr 0
		.amdhsa_user_sgpr_kernarg_segment_ptr 1
		.amdhsa_user_sgpr_dispatch_id 0
		.amdhsa_user_sgpr_flat_scratch_init 0
		.amdhsa_user_sgpr_kernarg_preload_length 0
		.amdhsa_user_sgpr_kernarg_preload_offset 0
		.amdhsa_user_sgpr_private_segment_size 0
		.amdhsa_uses_dynamic_stack 0
		.amdhsa_system_sgpr_private_segment_wavefront_offset 0
		.amdhsa_system_sgpr_workgroup_id_x 1
		.amdhsa_system_sgpr_workgroup_id_y 0
		.amdhsa_system_sgpr_workgroup_id_z 0
		.amdhsa_system_sgpr_workgroup_info 0
		.amdhsa_system_vgpr_workitem_id 0
		.amdhsa_next_free_vgpr 8
		.amdhsa_next_free_sgpr 15
		.amdhsa_accum_offset 8
		.amdhsa_reserve_vcc 1
		.amdhsa_reserve_flat_scratch 0
		.amdhsa_float_round_mode_32 0
		.amdhsa_float_round_mode_16_64 0
		.amdhsa_float_denorm_mode_32 3
		.amdhsa_float_denorm_mode_16_64 3
		.amdhsa_dx10_clamp 1
		.amdhsa_ieee_mode 1
		.amdhsa_fp16_overflow 0
		.amdhsa_tg_split 0
		.amdhsa_exception_fp_ieee_invalid_op 0
		.amdhsa_exception_fp_denorm_src 0
		.amdhsa_exception_fp_ieee_div_zero 0
		.amdhsa_exception_fp_ieee_overflow 0
		.amdhsa_exception_fp_ieee_underflow 0
		.amdhsa_exception_fp_ieee_inexact 0
		.amdhsa_exception_int_div_zero 0
	.end_amdhsa_kernel
	.section	.text._Z18warp_reduce_kernelILb0EiLj61ELj100EEvPKT0_PS0_,"axG",@progbits,_Z18warp_reduce_kernelILb0EiLj61ELj100EEvPKT0_PS0_,comdat
.Lfunc_end2:
	.size	_Z18warp_reduce_kernelILb0EiLj61ELj100EEvPKT0_PS0_, .Lfunc_end2-_Z18warp_reduce_kernelILb0EiLj61ELj100EEvPKT0_PS0_
                                        ; -- End function
	.section	.AMDGPU.csdata,"",@progbits
; Kernel info:
; codeLenInByte = 512
; NumSgprs: 19
; NumVgprs: 8
; NumAgprs: 0
; TotalNumVgprs: 8
; ScratchSize: 0
; MemoryBound: 0
; FloatMode: 240
; IeeeMode: 1
; LDSByteSize: 244 bytes/workgroup (compile time only)
; SGPRBlocks: 2
; VGPRBlocks: 0
; NumSGPRsForWavesPerEU: 19
; NumVGPRsForWavesPerEU: 8
; AccumOffset: 8
; Occupancy: 8
; WaveLimiterHint : 0
; COMPUTE_PGM_RSRC2:SCRATCH_EN: 0
; COMPUTE_PGM_RSRC2:USER_SGPR: 6
; COMPUTE_PGM_RSRC2:TRAP_HANDLER: 0
; COMPUTE_PGM_RSRC2:TGID_X_EN: 1
; COMPUTE_PGM_RSRC2:TGID_Y_EN: 0
; COMPUTE_PGM_RSRC2:TGID_Z_EN: 0
; COMPUTE_PGM_RSRC2:TIDIG_COMP_CNT: 0
; COMPUTE_PGM_RSRC3_GFX90A:ACCUM_OFFSET: 1
; COMPUTE_PGM_RSRC3_GFX90A:TG_SPLIT: 0
	.section	.text._Z18warp_reduce_kernelILb0EiLj64ELj100EEvPKT0_PS0_,"axG",@progbits,_Z18warp_reduce_kernelILb0EiLj64ELj100EEvPKT0_PS0_,comdat
	.protected	_Z18warp_reduce_kernelILb0EiLj64ELj100EEvPKT0_PS0_ ; -- Begin function _Z18warp_reduce_kernelILb0EiLj64ELj100EEvPKT0_PS0_
	.globl	_Z18warp_reduce_kernelILb0EiLj64ELj100EEvPKT0_PS0_
	.p2align	8
	.type	_Z18warp_reduce_kernelILb0EiLj64ELj100EEvPKT0_PS0_,@function
_Z18warp_reduce_kernelILb0EiLj64ELj100EEvPKT0_PS0_: ; @_Z18warp_reduce_kernelILb0EiLj64ELj100EEvPKT0_PS0_
; %bb.0:
	s_load_dword s7, s[4:5], 0x1c
	s_load_dwordx4 s[0:3], s[4:5], 0x0
	v_mov_b32_e32 v1, 0
	v_bfrev_b32_e32 v4, 0.5
	s_waitcnt lgkmcnt(0)
	s_and_b32 s4, s7, 0xffff
	s_mul_i32 s6, s6, s4
	v_add_u32_e32 v0, s6, v0
	v_lshlrev_b64 v[0:1], 2, v[0:1]
	v_mov_b32_e32 v3, s1
	v_add_co_u32_e32 v2, vcc, s0, v0
	v_addc_co_u32_e32 v3, vcc, v3, v1, vcc
	global_load_dword v2, v[2:3], off
	v_mbcnt_lo_u32_b32 v3, -1, 0
	v_mbcnt_hi_u32_b32 v3, -1, v3
	v_lshl_or_b32 v3, v3, 2, v4
	s_movk_i32 s0, 0x64
.LBB3_1:                                ; =>This Inner Loop Header: Depth=1
	s_waitcnt vmcnt(0) lgkmcnt(0)
	v_mov_b32_dpp v4, v2 quad_perm:[1,0,3,2] row_mask:0xf bank_mask:0xf
	v_add_u32_e32 v2, v4, v2
	s_add_i32 s0, s0, -1
	s_cmp_eq_u32 s0, 0
	v_mov_b32_dpp v4, v2 quad_perm:[2,3,0,1] row_mask:0xf bank_mask:0xf
	v_add_u32_e32 v2, v2, v4
	s_nop 1
	v_mov_b32_dpp v4, v2 row_ror:4 row_mask:0xf bank_mask:0xf
	v_add_u32_e32 v2, v2, v4
	s_nop 1
	v_mov_b32_dpp v4, v2 row_ror:8 row_mask:0xf bank_mask:0xf
	v_add_u32_e32 v2, v2, v4
	s_nop 1
	v_mov_b32_dpp v4, v2 row_bcast:15 row_mask:0xf bank_mask:0xf
	v_add_u32_e32 v2, v2, v4
	s_nop 1
	v_mov_b32_dpp v4, v2 row_bcast:31 row_mask:0xf bank_mask:0xf
	v_add_u32_e32 v2, v2, v4
	ds_bpermute_b32 v2, v3, v2
	s_cbranch_scc0 .LBB3_1
; %bb.2:
	v_mov_b32_e32 v3, s3
	v_add_co_u32_e32 v0, vcc, s2, v0
	v_addc_co_u32_e32 v1, vcc, v3, v1, vcc
	s_waitcnt lgkmcnt(0)
	global_store_dword v[0:1], v2, off
	s_endpgm
	.section	.rodata,"a",@progbits
	.p2align	6, 0x0
	.amdhsa_kernel _Z18warp_reduce_kernelILb0EiLj64ELj100EEvPKT0_PS0_
		.amdhsa_group_segment_fixed_size 0
		.amdhsa_private_segment_fixed_size 0
		.amdhsa_kernarg_size 272
		.amdhsa_user_sgpr_count 6
		.amdhsa_user_sgpr_private_segment_buffer 1
		.amdhsa_user_sgpr_dispatch_ptr 0
		.amdhsa_user_sgpr_queue_ptr 0
		.amdhsa_user_sgpr_kernarg_segment_ptr 1
		.amdhsa_user_sgpr_dispatch_id 0
		.amdhsa_user_sgpr_flat_scratch_init 0
		.amdhsa_user_sgpr_kernarg_preload_length 0
		.amdhsa_user_sgpr_kernarg_preload_offset 0
		.amdhsa_user_sgpr_private_segment_size 0
		.amdhsa_uses_dynamic_stack 0
		.amdhsa_system_sgpr_private_segment_wavefront_offset 0
		.amdhsa_system_sgpr_workgroup_id_x 1
		.amdhsa_system_sgpr_workgroup_id_y 0
		.amdhsa_system_sgpr_workgroup_id_z 0
		.amdhsa_system_sgpr_workgroup_info 0
		.amdhsa_system_vgpr_workitem_id 0
		.amdhsa_next_free_vgpr 5
		.amdhsa_next_free_sgpr 8
		.amdhsa_accum_offset 8
		.amdhsa_reserve_vcc 1
		.amdhsa_reserve_flat_scratch 0
		.amdhsa_float_round_mode_32 0
		.amdhsa_float_round_mode_16_64 0
		.amdhsa_float_denorm_mode_32 3
		.amdhsa_float_denorm_mode_16_64 3
		.amdhsa_dx10_clamp 1
		.amdhsa_ieee_mode 1
		.amdhsa_fp16_overflow 0
		.amdhsa_tg_split 0
		.amdhsa_exception_fp_ieee_invalid_op 0
		.amdhsa_exception_fp_denorm_src 0
		.amdhsa_exception_fp_ieee_div_zero 0
		.amdhsa_exception_fp_ieee_overflow 0
		.amdhsa_exception_fp_ieee_underflow 0
		.amdhsa_exception_fp_ieee_inexact 0
		.amdhsa_exception_int_div_zero 0
	.end_amdhsa_kernel
	.section	.text._Z18warp_reduce_kernelILb0EiLj64ELj100EEvPKT0_PS0_,"axG",@progbits,_Z18warp_reduce_kernelILb0EiLj64ELj100EEvPKT0_PS0_,comdat
.Lfunc_end3:
	.size	_Z18warp_reduce_kernelILb0EiLj64ELj100EEvPKT0_PS0_, .Lfunc_end3-_Z18warp_reduce_kernelILb0EiLj64ELj100EEvPKT0_PS0_
                                        ; -- End function
	.section	.AMDGPU.csdata,"",@progbits
; Kernel info:
; codeLenInByte = 240
; NumSgprs: 12
; NumVgprs: 5
; NumAgprs: 0
; TotalNumVgprs: 5
; ScratchSize: 0
; MemoryBound: 0
; FloatMode: 240
; IeeeMode: 1
; LDSByteSize: 0 bytes/workgroup (compile time only)
; SGPRBlocks: 1
; VGPRBlocks: 0
; NumSGPRsForWavesPerEU: 12
; NumVGPRsForWavesPerEU: 5
; AccumOffset: 8
; Occupancy: 8
; WaveLimiterHint : 0
; COMPUTE_PGM_RSRC2:SCRATCH_EN: 0
; COMPUTE_PGM_RSRC2:USER_SGPR: 6
; COMPUTE_PGM_RSRC2:TRAP_HANDLER: 0
; COMPUTE_PGM_RSRC2:TGID_X_EN: 1
; COMPUTE_PGM_RSRC2:TGID_Y_EN: 0
; COMPUTE_PGM_RSRC2:TGID_Z_EN: 0
; COMPUTE_PGM_RSRC2:TIDIG_COMP_CNT: 0
; COMPUTE_PGM_RSRC3_GFX90A:ACCUM_OFFSET: 1
; COMPUTE_PGM_RSRC3_GFX90A:TG_SPLIT: 0
	.section	.text._Z18warp_reduce_kernelILb0EfLj32ELj100EEvPKT0_PS0_,"axG",@progbits,_Z18warp_reduce_kernelILb0EfLj32ELj100EEvPKT0_PS0_,comdat
	.protected	_Z18warp_reduce_kernelILb0EfLj32ELj100EEvPKT0_PS0_ ; -- Begin function _Z18warp_reduce_kernelILb0EfLj32ELj100EEvPKT0_PS0_
	.globl	_Z18warp_reduce_kernelILb0EfLj32ELj100EEvPKT0_PS0_
	.p2align	8
	.type	_Z18warp_reduce_kernelILb0EfLj32ELj100EEvPKT0_PS0_,@function
_Z18warp_reduce_kernelILb0EfLj32ELj100EEvPKT0_PS0_: ; @_Z18warp_reduce_kernelILb0EfLj32ELj100EEvPKT0_PS0_
; %bb.0:
	s_load_dword s7, s[4:5], 0x1c
	s_load_dwordx4 s[0:3], s[4:5], 0x0
	v_mov_b32_e32 v1, 0
	s_waitcnt lgkmcnt(0)
	s_and_b32 s4, s7, 0xffff
	s_mul_i32 s6, s6, s4
	v_add_u32_e32 v0, s6, v0
	v_lshlrev_b64 v[0:1], 2, v[0:1]
	v_mov_b32_e32 v3, s1
	v_add_co_u32_e32 v2, vcc, s0, v0
	v_addc_co_u32_e32 v3, vcc, v3, v1, vcc
	global_load_dword v2, v[2:3], off
	v_mbcnt_lo_u32_b32 v3, -1, 0
	v_mbcnt_hi_u32_b32 v7, -1, v3
	v_and_b32_e32 v8, 31, v7
	v_cmp_ne_u32_e32 vcc, 31, v8
	v_addc_co_u32_e32 v3, vcc, 0, v7, vcc
	v_cmp_gt_u32_e32 vcc, 30, v8
	v_cndmask_b32_e64 v4, 0, 1, vcc
	v_cmp_gt_u32_e32 vcc, 28, v8
	v_cndmask_b32_e64 v5, 0, 1, vcc
	;; [unrolled: 2-line block ×4, first 2 shown]
	v_lshlrev_b32_e32 v4, 1, v4
	v_lshlrev_b32_e32 v5, 2, v5
	;; [unrolled: 1-line block ×5, first 2 shown]
	v_add_lshl_u32 v4, v4, v7, 2
	v_add_lshl_u32 v5, v5, v7, 2
	;; [unrolled: 1-line block ×4, first 2 shown]
	s_movk_i32 s0, 0x64
.LBB4_1:                                ; =>This Inner Loop Header: Depth=1
	s_waitcnt vmcnt(0)
	ds_bpermute_b32 v8, v3, v2
	s_add_i32 s0, s0, -1
	s_cmp_eq_u32 s0, 0
	s_waitcnt lgkmcnt(0)
	v_add_f32_e32 v2, v2, v8
	ds_bpermute_b32 v8, v4, v2
	s_waitcnt lgkmcnt(0)
	v_add_f32_e32 v2, v2, v8
	ds_bpermute_b32 v8, v5, v2
	;; [unrolled: 3-line block ×4, first 2 shown]
	s_waitcnt lgkmcnt(0)
	v_add_f32_e32 v2, v2, v8
	s_cbranch_scc0 .LBB4_1
; %bb.2:
	v_mov_b32_e32 v3, s3
	v_add_co_u32_e32 v0, vcc, s2, v0
	v_addc_co_u32_e32 v1, vcc, v3, v1, vcc
	global_store_dword v[0:1], v2, off
	s_endpgm
	.section	.rodata,"a",@progbits
	.p2align	6, 0x0
	.amdhsa_kernel _Z18warp_reduce_kernelILb0EfLj32ELj100EEvPKT0_PS0_
		.amdhsa_group_segment_fixed_size 0
		.amdhsa_private_segment_fixed_size 0
		.amdhsa_kernarg_size 272
		.amdhsa_user_sgpr_count 6
		.amdhsa_user_sgpr_private_segment_buffer 1
		.amdhsa_user_sgpr_dispatch_ptr 0
		.amdhsa_user_sgpr_queue_ptr 0
		.amdhsa_user_sgpr_kernarg_segment_ptr 1
		.amdhsa_user_sgpr_dispatch_id 0
		.amdhsa_user_sgpr_flat_scratch_init 0
		.amdhsa_user_sgpr_kernarg_preload_length 0
		.amdhsa_user_sgpr_kernarg_preload_offset 0
		.amdhsa_user_sgpr_private_segment_size 0
		.amdhsa_uses_dynamic_stack 0
		.amdhsa_system_sgpr_private_segment_wavefront_offset 0
		.amdhsa_system_sgpr_workgroup_id_x 1
		.amdhsa_system_sgpr_workgroup_id_y 0
		.amdhsa_system_sgpr_workgroup_id_z 0
		.amdhsa_system_sgpr_workgroup_info 0
		.amdhsa_system_vgpr_workitem_id 0
		.amdhsa_next_free_vgpr 9
		.amdhsa_next_free_sgpr 8
		.amdhsa_accum_offset 12
		.amdhsa_reserve_vcc 1
		.amdhsa_reserve_flat_scratch 0
		.amdhsa_float_round_mode_32 0
		.amdhsa_float_round_mode_16_64 0
		.amdhsa_float_denorm_mode_32 3
		.amdhsa_float_denorm_mode_16_64 3
		.amdhsa_dx10_clamp 1
		.amdhsa_ieee_mode 1
		.amdhsa_fp16_overflow 0
		.amdhsa_tg_split 0
		.amdhsa_exception_fp_ieee_invalid_op 0
		.amdhsa_exception_fp_denorm_src 0
		.amdhsa_exception_fp_ieee_div_zero 0
		.amdhsa_exception_fp_ieee_overflow 0
		.amdhsa_exception_fp_ieee_underflow 0
		.amdhsa_exception_fp_ieee_inexact 0
		.amdhsa_exception_int_div_zero 0
	.end_amdhsa_kernel
	.section	.text._Z18warp_reduce_kernelILb0EfLj32ELj100EEvPKT0_PS0_,"axG",@progbits,_Z18warp_reduce_kernelILb0EfLj32ELj100EEvPKT0_PS0_,comdat
.Lfunc_end4:
	.size	_Z18warp_reduce_kernelILb0EfLj32ELj100EEvPKT0_PS0_, .Lfunc_end4-_Z18warp_reduce_kernelILb0EfLj32ELj100EEvPKT0_PS0_
                                        ; -- End function
	.section	.AMDGPU.csdata,"",@progbits
; Kernel info:
; codeLenInByte = 320
; NumSgprs: 12
; NumVgprs: 9
; NumAgprs: 0
; TotalNumVgprs: 9
; ScratchSize: 0
; MemoryBound: 0
; FloatMode: 240
; IeeeMode: 1
; LDSByteSize: 0 bytes/workgroup (compile time only)
; SGPRBlocks: 1
; VGPRBlocks: 1
; NumSGPRsForWavesPerEU: 12
; NumVGPRsForWavesPerEU: 9
; AccumOffset: 12
; Occupancy: 8
; WaveLimiterHint : 0
; COMPUTE_PGM_RSRC2:SCRATCH_EN: 0
; COMPUTE_PGM_RSRC2:USER_SGPR: 6
; COMPUTE_PGM_RSRC2:TRAP_HANDLER: 0
; COMPUTE_PGM_RSRC2:TGID_X_EN: 1
; COMPUTE_PGM_RSRC2:TGID_Y_EN: 0
; COMPUTE_PGM_RSRC2:TGID_Z_EN: 0
; COMPUTE_PGM_RSRC2:TIDIG_COMP_CNT: 0
; COMPUTE_PGM_RSRC3_GFX90A:ACCUM_OFFSET: 2
; COMPUTE_PGM_RSRC3_GFX90A:TG_SPLIT: 0
	.section	.text._Z18warp_reduce_kernelILb0EfLj37ELj100EEvPKT0_PS0_,"axG",@progbits,_Z18warp_reduce_kernelILb0EfLj37ELj100EEvPKT0_PS0_,comdat
	.protected	_Z18warp_reduce_kernelILb0EfLj37ELj100EEvPKT0_PS0_ ; -- Begin function _Z18warp_reduce_kernelILb0EfLj37ELj100EEvPKT0_PS0_
	.globl	_Z18warp_reduce_kernelILb0EfLj37ELj100EEvPKT0_PS0_
	.p2align	8
	.type	_Z18warp_reduce_kernelILb0EfLj37ELj100EEvPKT0_PS0_,@function
_Z18warp_reduce_kernelILb0EfLj37ELj100EEvPKT0_PS0_: ; @_Z18warp_reduce_kernelILb0EfLj37ELj100EEvPKT0_PS0_
; %bb.0:
	s_load_dword s0, s[4:5], 0x1c
	s_load_dwordx4 s[8:11], s[4:5], 0x0
	v_mov_b32_e32 v1, 0
	s_movk_i32 s14, 0x64
	s_waitcnt lgkmcnt(0)
	s_and_b32 s0, s0, 0xffff
	s_mul_i32 s6, s6, s0
	v_add_u32_e32 v0, s6, v0
	v_lshlrev_b64 v[2:3], 2, v[0:1]
	v_mov_b32_e32 v0, s9
	v_add_co_u32_e32 v4, vcc, s8, v2
	v_addc_co_u32_e32 v5, vcc, v0, v3, vcc
	global_load_dword v0, v[4:5], off
	v_mbcnt_lo_u32_b32 v4, -1, 0
	v_mbcnt_hi_u32_b32 v4, -1, v4
	s_mov_b32 s0, 0x6eb3e46
	v_mul_hi_u32 v5, v4, s0
	v_mul_u32_u24_e32 v5, 37, v5
	v_sub_u32_e32 v5, v4, v5
	v_lshlrev_b32_e32 v4, 2, v5
	v_cmp_gt_u32_e32 vcc, 5, v5
	v_cmp_gt_u32_e64 s[0:1], 16, v5
	v_cmp_gt_u32_e64 s[2:3], 8, v5
	;; [unrolled: 1-line block ×4, first 2 shown]
	v_cmp_eq_u32_e64 s[8:9], 0, v5
	s_branch .LBB5_2
.LBB5_1:                                ;   in Loop: Header=BB5_2 Depth=1
	s_or_b64 exec, exec, s[12:13]
	s_add_i32 s14, s14, -1
	s_cmp_eq_u32 s14, 0
	; wave barrier
	s_cbranch_scc1 .LBB5_26
.LBB5_2:                                ; =>This Inner Loop Header: Depth=1
	s_waitcnt vmcnt(0)
	ds_write_b32 v4, v0
	; wave barrier
	s_and_saveexec_b64 s[12:13], vcc
	s_cbranch_execz .LBB5_4
; %bb.3:                                ;   in Loop: Header=BB5_2 Depth=1
	ds_read2_b32 v[6:7], v4 offset1:32
	s_waitcnt lgkmcnt(0)
	v_add_f32_e32 v0, v6, v7
.LBB5_4:                                ;   in Loop: Header=BB5_2 Depth=1
	s_or_b64 exec, exec, s[12:13]
	; wave barrier
	s_and_saveexec_b64 s[12:13], vcc
	s_cbranch_execz .LBB5_6
; %bb.5:                                ;   in Loop: Header=BB5_2 Depth=1
	ds_write_b32 v4, v0
.LBB5_6:                                ;   in Loop: Header=BB5_2 Depth=1
	s_or_b64 exec, exec, s[12:13]
	; wave barrier
	s_and_saveexec_b64 s[12:13], s[0:1]
	s_cbranch_execz .LBB5_8
; %bb.7:                                ;   in Loop: Header=BB5_2 Depth=1
	ds_read2_b32 v[6:7], v4 offset1:16
	s_waitcnt lgkmcnt(0)
	v_add_f32_e32 v0, v6, v7
.LBB5_8:                                ;   in Loop: Header=BB5_2 Depth=1
	s_or_b64 exec, exec, s[12:13]
	; wave barrier
	s_and_saveexec_b64 s[12:13], s[0:1]
	s_cbranch_execz .LBB5_10
; %bb.9:                                ;   in Loop: Header=BB5_2 Depth=1
	ds_write_b32 v4, v0
.LBB5_10:                               ;   in Loop: Header=BB5_2 Depth=1
	s_or_b64 exec, exec, s[12:13]
	; wave barrier
	s_and_saveexec_b64 s[12:13], s[2:3]
	s_cbranch_execz .LBB5_12
; %bb.11:                               ;   in Loop: Header=BB5_2 Depth=1
	ds_read2_b32 v[6:7], v4 offset1:8
	s_waitcnt lgkmcnt(0)
	v_add_f32_e32 v0, v6, v7
.LBB5_12:                               ;   in Loop: Header=BB5_2 Depth=1
	s_or_b64 exec, exec, s[12:13]
	; wave barrier
	s_and_saveexec_b64 s[12:13], s[2:3]
	s_cbranch_execz .LBB5_14
; %bb.13:                               ;   in Loop: Header=BB5_2 Depth=1
	ds_write_b32 v4, v0
.LBB5_14:                               ;   in Loop: Header=BB5_2 Depth=1
	s_or_b64 exec, exec, s[12:13]
	; wave barrier
	s_and_saveexec_b64 s[12:13], s[4:5]
	s_cbranch_execz .LBB5_16
; %bb.15:                               ;   in Loop: Header=BB5_2 Depth=1
	ds_read2_b32 v[6:7], v4 offset1:4
	s_waitcnt lgkmcnt(0)
	v_add_f32_e32 v0, v6, v7
.LBB5_16:                               ;   in Loop: Header=BB5_2 Depth=1
	s_or_b64 exec, exec, s[12:13]
	; wave barrier
	s_and_saveexec_b64 s[12:13], s[4:5]
	s_cbranch_execz .LBB5_18
; %bb.17:                               ;   in Loop: Header=BB5_2 Depth=1
	ds_write_b32 v4, v0
.LBB5_18:                               ;   in Loop: Header=BB5_2 Depth=1
	;; [unrolled: 16-line block ×3, first 2 shown]
	s_or_b64 exec, exec, s[12:13]
	; wave barrier
	s_and_saveexec_b64 s[12:13], s[8:9]
	s_cbranch_execz .LBB5_24
; %bb.23:                               ;   in Loop: Header=BB5_2 Depth=1
	ds_read_b32 v0, v4
	ds_read_b32 v5, v1 offset:4
	s_waitcnt lgkmcnt(0)
	v_add_f32_e32 v0, v0, v5
.LBB5_24:                               ;   in Loop: Header=BB5_2 Depth=1
	s_or_b64 exec, exec, s[12:13]
	; wave barrier
	s_and_saveexec_b64 s[12:13], s[8:9]
	s_cbranch_execz .LBB5_1
; %bb.25:                               ;   in Loop: Header=BB5_2 Depth=1
	ds_write_b32 v4, v0
	s_branch .LBB5_1
.LBB5_26:
	v_mov_b32_e32 v1, s11
	v_add_co_u32_e32 v2, vcc, s10, v2
	v_addc_co_u32_e32 v3, vcc, v1, v3, vcc
	global_store_dword v[2:3], v0, off
	s_endpgm
	.section	.rodata,"a",@progbits
	.p2align	6, 0x0
	.amdhsa_kernel _Z18warp_reduce_kernelILb0EfLj37ELj100EEvPKT0_PS0_
		.amdhsa_group_segment_fixed_size 148
		.amdhsa_private_segment_fixed_size 0
		.amdhsa_kernarg_size 272
		.amdhsa_user_sgpr_count 6
		.amdhsa_user_sgpr_private_segment_buffer 1
		.amdhsa_user_sgpr_dispatch_ptr 0
		.amdhsa_user_sgpr_queue_ptr 0
		.amdhsa_user_sgpr_kernarg_segment_ptr 1
		.amdhsa_user_sgpr_dispatch_id 0
		.amdhsa_user_sgpr_flat_scratch_init 0
		.amdhsa_user_sgpr_kernarg_preload_length 0
		.amdhsa_user_sgpr_kernarg_preload_offset 0
		.amdhsa_user_sgpr_private_segment_size 0
		.amdhsa_uses_dynamic_stack 0
		.amdhsa_system_sgpr_private_segment_wavefront_offset 0
		.amdhsa_system_sgpr_workgroup_id_x 1
		.amdhsa_system_sgpr_workgroup_id_y 0
		.amdhsa_system_sgpr_workgroup_id_z 0
		.amdhsa_system_sgpr_workgroup_info 0
		.amdhsa_system_vgpr_workitem_id 0
		.amdhsa_next_free_vgpr 8
		.amdhsa_next_free_sgpr 15
		.amdhsa_accum_offset 8
		.amdhsa_reserve_vcc 1
		.amdhsa_reserve_flat_scratch 0
		.amdhsa_float_round_mode_32 0
		.amdhsa_float_round_mode_16_64 0
		.amdhsa_float_denorm_mode_32 3
		.amdhsa_float_denorm_mode_16_64 3
		.amdhsa_dx10_clamp 1
		.amdhsa_ieee_mode 1
		.amdhsa_fp16_overflow 0
		.amdhsa_tg_split 0
		.amdhsa_exception_fp_ieee_invalid_op 0
		.amdhsa_exception_fp_denorm_src 0
		.amdhsa_exception_fp_ieee_div_zero 0
		.amdhsa_exception_fp_ieee_overflow 0
		.amdhsa_exception_fp_ieee_underflow 0
		.amdhsa_exception_fp_ieee_inexact 0
		.amdhsa_exception_int_div_zero 0
	.end_amdhsa_kernel
	.section	.text._Z18warp_reduce_kernelILb0EfLj37ELj100EEvPKT0_PS0_,"axG",@progbits,_Z18warp_reduce_kernelILb0EfLj37ELj100EEvPKT0_PS0_,comdat
.Lfunc_end5:
	.size	_Z18warp_reduce_kernelILb0EfLj37ELj100EEvPKT0_PS0_, .Lfunc_end5-_Z18warp_reduce_kernelILb0EfLj37ELj100EEvPKT0_PS0_
                                        ; -- End function
	.section	.AMDGPU.csdata,"",@progbits
; Kernel info:
; codeLenInByte = 512
; NumSgprs: 19
; NumVgprs: 8
; NumAgprs: 0
; TotalNumVgprs: 8
; ScratchSize: 0
; MemoryBound: 0
; FloatMode: 240
; IeeeMode: 1
; LDSByteSize: 148 bytes/workgroup (compile time only)
; SGPRBlocks: 2
; VGPRBlocks: 0
; NumSGPRsForWavesPerEU: 19
; NumVGPRsForWavesPerEU: 8
; AccumOffset: 8
; Occupancy: 8
; WaveLimiterHint : 0
; COMPUTE_PGM_RSRC2:SCRATCH_EN: 0
; COMPUTE_PGM_RSRC2:USER_SGPR: 6
; COMPUTE_PGM_RSRC2:TRAP_HANDLER: 0
; COMPUTE_PGM_RSRC2:TGID_X_EN: 1
; COMPUTE_PGM_RSRC2:TGID_Y_EN: 0
; COMPUTE_PGM_RSRC2:TGID_Z_EN: 0
; COMPUTE_PGM_RSRC2:TIDIG_COMP_CNT: 0
; COMPUTE_PGM_RSRC3_GFX90A:ACCUM_OFFSET: 1
; COMPUTE_PGM_RSRC3_GFX90A:TG_SPLIT: 0
	.section	.text._Z18warp_reduce_kernelILb0EfLj61ELj100EEvPKT0_PS0_,"axG",@progbits,_Z18warp_reduce_kernelILb0EfLj61ELj100EEvPKT0_PS0_,comdat
	.protected	_Z18warp_reduce_kernelILb0EfLj61ELj100EEvPKT0_PS0_ ; -- Begin function _Z18warp_reduce_kernelILb0EfLj61ELj100EEvPKT0_PS0_
	.globl	_Z18warp_reduce_kernelILb0EfLj61ELj100EEvPKT0_PS0_
	.p2align	8
	.type	_Z18warp_reduce_kernelILb0EfLj61ELj100EEvPKT0_PS0_,@function
_Z18warp_reduce_kernelILb0EfLj61ELj100EEvPKT0_PS0_: ; @_Z18warp_reduce_kernelILb0EfLj61ELj100EEvPKT0_PS0_
; %bb.0:
	s_load_dword s0, s[4:5], 0x1c
	s_load_dwordx4 s[8:11], s[4:5], 0x0
	v_mov_b32_e32 v1, 0
	s_movk_i32 s14, 0x64
	s_waitcnt lgkmcnt(0)
	s_and_b32 s0, s0, 0xffff
	s_mul_i32 s6, s6, s0
	v_add_u32_e32 v0, s6, v0
	v_lshlrev_b64 v[2:3], 2, v[0:1]
	v_mov_b32_e32 v0, s9
	v_add_co_u32_e32 v4, vcc, s8, v2
	v_addc_co_u32_e32 v5, vcc, v0, v3, vcc
	global_load_dword v0, v[4:5], off
	v_mbcnt_lo_u32_b32 v4, -1, 0
	v_mbcnt_hi_u32_b32 v4, -1, v4
	s_mov_b32 s0, 0x4325c54
	v_mul_hi_u32 v5, v4, s0
	v_mul_u32_u24_e32 v5, 61, v5
	v_sub_u32_e32 v5, v4, v5
	v_lshlrev_b32_e32 v4, 2, v5
	v_cmp_gt_u32_e32 vcc, 29, v5
	v_cmp_gt_u32_e64 s[0:1], 16, v5
	v_cmp_gt_u32_e64 s[2:3], 8, v5
	;; [unrolled: 1-line block ×4, first 2 shown]
	v_cmp_eq_u32_e64 s[8:9], 0, v5
	s_branch .LBB6_2
.LBB6_1:                                ;   in Loop: Header=BB6_2 Depth=1
	s_or_b64 exec, exec, s[12:13]
	s_add_i32 s14, s14, -1
	s_cmp_eq_u32 s14, 0
	; wave barrier
	s_cbranch_scc1 .LBB6_26
.LBB6_2:                                ; =>This Inner Loop Header: Depth=1
	s_waitcnt vmcnt(0)
	ds_write_b32 v4, v0
	; wave barrier
	s_and_saveexec_b64 s[12:13], vcc
	s_cbranch_execz .LBB6_4
; %bb.3:                                ;   in Loop: Header=BB6_2 Depth=1
	ds_read2_b32 v[6:7], v4 offset1:32
	s_waitcnt lgkmcnt(0)
	v_add_f32_e32 v0, v6, v7
.LBB6_4:                                ;   in Loop: Header=BB6_2 Depth=1
	s_or_b64 exec, exec, s[12:13]
	; wave barrier
	s_and_saveexec_b64 s[12:13], vcc
	s_cbranch_execz .LBB6_6
; %bb.5:                                ;   in Loop: Header=BB6_2 Depth=1
	ds_write_b32 v4, v0
.LBB6_6:                                ;   in Loop: Header=BB6_2 Depth=1
	s_or_b64 exec, exec, s[12:13]
	; wave barrier
	s_and_saveexec_b64 s[12:13], s[0:1]
	s_cbranch_execz .LBB6_8
; %bb.7:                                ;   in Loop: Header=BB6_2 Depth=1
	ds_read2_b32 v[6:7], v4 offset1:16
	s_waitcnt lgkmcnt(0)
	v_add_f32_e32 v0, v6, v7
.LBB6_8:                                ;   in Loop: Header=BB6_2 Depth=1
	s_or_b64 exec, exec, s[12:13]
	; wave barrier
	s_and_saveexec_b64 s[12:13], s[0:1]
	s_cbranch_execz .LBB6_10
; %bb.9:                                ;   in Loop: Header=BB6_2 Depth=1
	ds_write_b32 v4, v0
.LBB6_10:                               ;   in Loop: Header=BB6_2 Depth=1
	s_or_b64 exec, exec, s[12:13]
	; wave barrier
	s_and_saveexec_b64 s[12:13], s[2:3]
	s_cbranch_execz .LBB6_12
; %bb.11:                               ;   in Loop: Header=BB6_2 Depth=1
	ds_read2_b32 v[6:7], v4 offset1:8
	s_waitcnt lgkmcnt(0)
	v_add_f32_e32 v0, v6, v7
.LBB6_12:                               ;   in Loop: Header=BB6_2 Depth=1
	s_or_b64 exec, exec, s[12:13]
	; wave barrier
	s_and_saveexec_b64 s[12:13], s[2:3]
	s_cbranch_execz .LBB6_14
; %bb.13:                               ;   in Loop: Header=BB6_2 Depth=1
	ds_write_b32 v4, v0
.LBB6_14:                               ;   in Loop: Header=BB6_2 Depth=1
	s_or_b64 exec, exec, s[12:13]
	; wave barrier
	s_and_saveexec_b64 s[12:13], s[4:5]
	s_cbranch_execz .LBB6_16
; %bb.15:                               ;   in Loop: Header=BB6_2 Depth=1
	ds_read2_b32 v[6:7], v4 offset1:4
	s_waitcnt lgkmcnt(0)
	v_add_f32_e32 v0, v6, v7
.LBB6_16:                               ;   in Loop: Header=BB6_2 Depth=1
	s_or_b64 exec, exec, s[12:13]
	; wave barrier
	s_and_saveexec_b64 s[12:13], s[4:5]
	s_cbranch_execz .LBB6_18
; %bb.17:                               ;   in Loop: Header=BB6_2 Depth=1
	ds_write_b32 v4, v0
.LBB6_18:                               ;   in Loop: Header=BB6_2 Depth=1
	;; [unrolled: 16-line block ×3, first 2 shown]
	s_or_b64 exec, exec, s[12:13]
	; wave barrier
	s_and_saveexec_b64 s[12:13], s[8:9]
	s_cbranch_execz .LBB6_24
; %bb.23:                               ;   in Loop: Header=BB6_2 Depth=1
	ds_read_b32 v0, v4
	ds_read_b32 v5, v1 offset:4
	s_waitcnt lgkmcnt(0)
	v_add_f32_e32 v0, v0, v5
.LBB6_24:                               ;   in Loop: Header=BB6_2 Depth=1
	s_or_b64 exec, exec, s[12:13]
	; wave barrier
	s_and_saveexec_b64 s[12:13], s[8:9]
	s_cbranch_execz .LBB6_1
; %bb.25:                               ;   in Loop: Header=BB6_2 Depth=1
	ds_write_b32 v4, v0
	s_branch .LBB6_1
.LBB6_26:
	v_mov_b32_e32 v1, s11
	v_add_co_u32_e32 v2, vcc, s10, v2
	v_addc_co_u32_e32 v3, vcc, v1, v3, vcc
	global_store_dword v[2:3], v0, off
	s_endpgm
	.section	.rodata,"a",@progbits
	.p2align	6, 0x0
	.amdhsa_kernel _Z18warp_reduce_kernelILb0EfLj61ELj100EEvPKT0_PS0_
		.amdhsa_group_segment_fixed_size 244
		.amdhsa_private_segment_fixed_size 0
		.amdhsa_kernarg_size 272
		.amdhsa_user_sgpr_count 6
		.amdhsa_user_sgpr_private_segment_buffer 1
		.amdhsa_user_sgpr_dispatch_ptr 0
		.amdhsa_user_sgpr_queue_ptr 0
		.amdhsa_user_sgpr_kernarg_segment_ptr 1
		.amdhsa_user_sgpr_dispatch_id 0
		.amdhsa_user_sgpr_flat_scratch_init 0
		.amdhsa_user_sgpr_kernarg_preload_length 0
		.amdhsa_user_sgpr_kernarg_preload_offset 0
		.amdhsa_user_sgpr_private_segment_size 0
		.amdhsa_uses_dynamic_stack 0
		.amdhsa_system_sgpr_private_segment_wavefront_offset 0
		.amdhsa_system_sgpr_workgroup_id_x 1
		.amdhsa_system_sgpr_workgroup_id_y 0
		.amdhsa_system_sgpr_workgroup_id_z 0
		.amdhsa_system_sgpr_workgroup_info 0
		.amdhsa_system_vgpr_workitem_id 0
		.amdhsa_next_free_vgpr 8
		.amdhsa_next_free_sgpr 15
		.amdhsa_accum_offset 8
		.amdhsa_reserve_vcc 1
		.amdhsa_reserve_flat_scratch 0
		.amdhsa_float_round_mode_32 0
		.amdhsa_float_round_mode_16_64 0
		.amdhsa_float_denorm_mode_32 3
		.amdhsa_float_denorm_mode_16_64 3
		.amdhsa_dx10_clamp 1
		.amdhsa_ieee_mode 1
		.amdhsa_fp16_overflow 0
		.amdhsa_tg_split 0
		.amdhsa_exception_fp_ieee_invalid_op 0
		.amdhsa_exception_fp_denorm_src 0
		.amdhsa_exception_fp_ieee_div_zero 0
		.amdhsa_exception_fp_ieee_overflow 0
		.amdhsa_exception_fp_ieee_underflow 0
		.amdhsa_exception_fp_ieee_inexact 0
		.amdhsa_exception_int_div_zero 0
	.end_amdhsa_kernel
	.section	.text._Z18warp_reduce_kernelILb0EfLj61ELj100EEvPKT0_PS0_,"axG",@progbits,_Z18warp_reduce_kernelILb0EfLj61ELj100EEvPKT0_PS0_,comdat
.Lfunc_end6:
	.size	_Z18warp_reduce_kernelILb0EfLj61ELj100EEvPKT0_PS0_, .Lfunc_end6-_Z18warp_reduce_kernelILb0EfLj61ELj100EEvPKT0_PS0_
                                        ; -- End function
	.section	.AMDGPU.csdata,"",@progbits
; Kernel info:
; codeLenInByte = 512
; NumSgprs: 19
; NumVgprs: 8
; NumAgprs: 0
; TotalNumVgprs: 8
; ScratchSize: 0
; MemoryBound: 0
; FloatMode: 240
; IeeeMode: 1
; LDSByteSize: 244 bytes/workgroup (compile time only)
; SGPRBlocks: 2
; VGPRBlocks: 0
; NumSGPRsForWavesPerEU: 19
; NumVGPRsForWavesPerEU: 8
; AccumOffset: 8
; Occupancy: 8
; WaveLimiterHint : 0
; COMPUTE_PGM_RSRC2:SCRATCH_EN: 0
; COMPUTE_PGM_RSRC2:USER_SGPR: 6
; COMPUTE_PGM_RSRC2:TRAP_HANDLER: 0
; COMPUTE_PGM_RSRC2:TGID_X_EN: 1
; COMPUTE_PGM_RSRC2:TGID_Y_EN: 0
; COMPUTE_PGM_RSRC2:TGID_Z_EN: 0
; COMPUTE_PGM_RSRC2:TIDIG_COMP_CNT: 0
; COMPUTE_PGM_RSRC3_GFX90A:ACCUM_OFFSET: 1
; COMPUTE_PGM_RSRC3_GFX90A:TG_SPLIT: 0
	.section	.text._Z18warp_reduce_kernelILb0EfLj64ELj100EEvPKT0_PS0_,"axG",@progbits,_Z18warp_reduce_kernelILb0EfLj64ELj100EEvPKT0_PS0_,comdat
	.protected	_Z18warp_reduce_kernelILb0EfLj64ELj100EEvPKT0_PS0_ ; -- Begin function _Z18warp_reduce_kernelILb0EfLj64ELj100EEvPKT0_PS0_
	.globl	_Z18warp_reduce_kernelILb0EfLj64ELj100EEvPKT0_PS0_
	.p2align	8
	.type	_Z18warp_reduce_kernelILb0EfLj64ELj100EEvPKT0_PS0_,@function
_Z18warp_reduce_kernelILb0EfLj64ELj100EEvPKT0_PS0_: ; @_Z18warp_reduce_kernelILb0EfLj64ELj100EEvPKT0_PS0_
; %bb.0:
	s_load_dword s7, s[4:5], 0x1c
	s_load_dwordx4 s[0:3], s[4:5], 0x0
	v_mov_b32_e32 v1, 0
	v_bfrev_b32_e32 v4, 0.5
	s_waitcnt lgkmcnt(0)
	s_and_b32 s4, s7, 0xffff
	s_mul_i32 s6, s6, s4
	v_add_u32_e32 v0, s6, v0
	v_lshlrev_b64 v[0:1], 2, v[0:1]
	v_mov_b32_e32 v3, s1
	v_add_co_u32_e32 v2, vcc, s0, v0
	v_addc_co_u32_e32 v3, vcc, v3, v1, vcc
	global_load_dword v2, v[2:3], off
	v_mbcnt_lo_u32_b32 v3, -1, 0
	v_mbcnt_hi_u32_b32 v3, -1, v3
	v_lshl_or_b32 v3, v3, 2, v4
	s_movk_i32 s0, 0x64
.LBB7_1:                                ; =>This Inner Loop Header: Depth=1
	s_waitcnt vmcnt(0) lgkmcnt(0)
	v_mov_b32_dpp v4, v2 quad_perm:[1,0,3,2] row_mask:0xf bank_mask:0xf
	v_add_f32_e32 v2, v2, v4
	s_add_i32 s0, s0, -1
	s_cmp_eq_u32 s0, 0
	v_mov_b32_dpp v4, v2 quad_perm:[2,3,0,1] row_mask:0xf bank_mask:0xf
	v_add_f32_e32 v2, v2, v4
	s_nop 1
	v_mov_b32_dpp v4, v2 row_ror:4 row_mask:0xf bank_mask:0xf
	v_add_f32_e32 v2, v2, v4
	s_nop 1
	v_mov_b32_dpp v4, v2 row_ror:8 row_mask:0xf bank_mask:0xf
	v_add_f32_e32 v2, v2, v4
	s_nop 1
	v_mov_b32_dpp v4, v2 row_bcast:15 row_mask:0xf bank_mask:0xf
	v_add_f32_e32 v2, v2, v4
	s_nop 1
	v_mov_b32_dpp v4, v2 row_bcast:31 row_mask:0xf bank_mask:0xf
	v_add_f32_e32 v2, v2, v4
	ds_bpermute_b32 v2, v3, v2
	s_cbranch_scc0 .LBB7_1
; %bb.2:
	v_mov_b32_e32 v3, s3
	v_add_co_u32_e32 v0, vcc, s2, v0
	v_addc_co_u32_e32 v1, vcc, v3, v1, vcc
	s_waitcnt lgkmcnt(0)
	global_store_dword v[0:1], v2, off
	s_endpgm
	.section	.rodata,"a",@progbits
	.p2align	6, 0x0
	.amdhsa_kernel _Z18warp_reduce_kernelILb0EfLj64ELj100EEvPKT0_PS0_
		.amdhsa_group_segment_fixed_size 0
		.amdhsa_private_segment_fixed_size 0
		.amdhsa_kernarg_size 272
		.amdhsa_user_sgpr_count 6
		.amdhsa_user_sgpr_private_segment_buffer 1
		.amdhsa_user_sgpr_dispatch_ptr 0
		.amdhsa_user_sgpr_queue_ptr 0
		.amdhsa_user_sgpr_kernarg_segment_ptr 1
		.amdhsa_user_sgpr_dispatch_id 0
		.amdhsa_user_sgpr_flat_scratch_init 0
		.amdhsa_user_sgpr_kernarg_preload_length 0
		.amdhsa_user_sgpr_kernarg_preload_offset 0
		.amdhsa_user_sgpr_private_segment_size 0
		.amdhsa_uses_dynamic_stack 0
		.amdhsa_system_sgpr_private_segment_wavefront_offset 0
		.amdhsa_system_sgpr_workgroup_id_x 1
		.amdhsa_system_sgpr_workgroup_id_y 0
		.amdhsa_system_sgpr_workgroup_id_z 0
		.amdhsa_system_sgpr_workgroup_info 0
		.amdhsa_system_vgpr_workitem_id 0
		.amdhsa_next_free_vgpr 5
		.amdhsa_next_free_sgpr 8
		.amdhsa_accum_offset 8
		.amdhsa_reserve_vcc 1
		.amdhsa_reserve_flat_scratch 0
		.amdhsa_float_round_mode_32 0
		.amdhsa_float_round_mode_16_64 0
		.amdhsa_float_denorm_mode_32 3
		.amdhsa_float_denorm_mode_16_64 3
		.amdhsa_dx10_clamp 1
		.amdhsa_ieee_mode 1
		.amdhsa_fp16_overflow 0
		.amdhsa_tg_split 0
		.amdhsa_exception_fp_ieee_invalid_op 0
		.amdhsa_exception_fp_denorm_src 0
		.amdhsa_exception_fp_ieee_div_zero 0
		.amdhsa_exception_fp_ieee_overflow 0
		.amdhsa_exception_fp_ieee_underflow 0
		.amdhsa_exception_fp_ieee_inexact 0
		.amdhsa_exception_int_div_zero 0
	.end_amdhsa_kernel
	.section	.text._Z18warp_reduce_kernelILb0EfLj64ELj100EEvPKT0_PS0_,"axG",@progbits,_Z18warp_reduce_kernelILb0EfLj64ELj100EEvPKT0_PS0_,comdat
.Lfunc_end7:
	.size	_Z18warp_reduce_kernelILb0EfLj64ELj100EEvPKT0_PS0_, .Lfunc_end7-_Z18warp_reduce_kernelILb0EfLj64ELj100EEvPKT0_PS0_
                                        ; -- End function
	.section	.AMDGPU.csdata,"",@progbits
; Kernel info:
; codeLenInByte = 240
; NumSgprs: 12
; NumVgprs: 5
; NumAgprs: 0
; TotalNumVgprs: 5
; ScratchSize: 0
; MemoryBound: 0
; FloatMode: 240
; IeeeMode: 1
; LDSByteSize: 0 bytes/workgroup (compile time only)
; SGPRBlocks: 1
; VGPRBlocks: 0
; NumSGPRsForWavesPerEU: 12
; NumVGPRsForWavesPerEU: 5
; AccumOffset: 8
; Occupancy: 8
; WaveLimiterHint : 0
; COMPUTE_PGM_RSRC2:SCRATCH_EN: 0
; COMPUTE_PGM_RSRC2:USER_SGPR: 6
; COMPUTE_PGM_RSRC2:TRAP_HANDLER: 0
; COMPUTE_PGM_RSRC2:TGID_X_EN: 1
; COMPUTE_PGM_RSRC2:TGID_Y_EN: 0
; COMPUTE_PGM_RSRC2:TGID_Z_EN: 0
; COMPUTE_PGM_RSRC2:TIDIG_COMP_CNT: 0
; COMPUTE_PGM_RSRC3_GFX90A:ACCUM_OFFSET: 1
; COMPUTE_PGM_RSRC3_GFX90A:TG_SPLIT: 0
	.section	.text._Z18warp_reduce_kernelILb0EdLj32ELj100EEvPKT0_PS0_,"axG",@progbits,_Z18warp_reduce_kernelILb0EdLj32ELj100EEvPKT0_PS0_,comdat
	.protected	_Z18warp_reduce_kernelILb0EdLj32ELj100EEvPKT0_PS0_ ; -- Begin function _Z18warp_reduce_kernelILb0EdLj32ELj100EEvPKT0_PS0_
	.globl	_Z18warp_reduce_kernelILb0EdLj32ELj100EEvPKT0_PS0_
	.p2align	8
	.type	_Z18warp_reduce_kernelILb0EdLj32ELj100EEvPKT0_PS0_,@function
_Z18warp_reduce_kernelILb0EdLj32ELj100EEvPKT0_PS0_: ; @_Z18warp_reduce_kernelILb0EdLj32ELj100EEvPKT0_PS0_
; %bb.0:
	s_load_dword s7, s[4:5], 0x1c
	s_load_dwordx4 s[0:3], s[4:5], 0x0
	v_mov_b32_e32 v1, 0
	v_mbcnt_lo_u32_b32 v4, -1, 0
	v_mbcnt_hi_u32_b32 v8, -1, v4
	s_waitcnt lgkmcnt(0)
	s_and_b32 s4, s7, 0xffff
	s_mul_i32 s6, s6, s4
	v_add_u32_e32 v0, s6, v0
	v_lshlrev_b64 v[0:1], 3, v[0:1]
	v_mov_b32_e32 v3, s1
	v_add_co_u32_e32 v2, vcc, s0, v0
	v_addc_co_u32_e32 v3, vcc, v3, v1, vcc
	global_load_dwordx2 v[2:3], v[2:3], off
	v_and_b32_e32 v9, 31, v8
	v_cmp_ne_u32_e32 vcc, 31, v9
	v_addc_co_u32_e32 v4, vcc, 0, v8, vcc
	v_cmp_gt_u32_e32 vcc, 30, v9
	v_cndmask_b32_e64 v5, 0, 1, vcc
	v_cmp_gt_u32_e32 vcc, 28, v9
	v_cndmask_b32_e64 v6, 0, 1, vcc
	;; [unrolled: 2-line block ×4, first 2 shown]
	v_lshlrev_b32_e32 v5, 1, v5
	v_lshlrev_b32_e32 v6, 2, v6
	v_lshlrev_b32_e32 v7, 3, v7
	v_lshlrev_b32_e32 v9, 4, v9
	v_lshlrev_b32_e32 v4, 2, v4
	v_add_lshl_u32 v5, v5, v8, 2
	v_add_lshl_u32 v6, v6, v8, 2
	;; [unrolled: 1-line block ×4, first 2 shown]
	s_movk_i32 s0, 0x64
.LBB8_1:                                ; =>This Inner Loop Header: Depth=1
	s_waitcnt vmcnt(0)
	ds_bpermute_b32 v10, v4, v2
	ds_bpermute_b32 v11, v4, v3
	s_add_i32 s0, s0, -1
	s_cmp_eq_u32 s0, 0
	s_waitcnt lgkmcnt(0)
	v_add_f64 v[2:3], v[2:3], v[10:11]
	ds_bpermute_b32 v10, v5, v2
	ds_bpermute_b32 v11, v5, v3
	s_waitcnt lgkmcnt(0)
	v_add_f64 v[2:3], v[2:3], v[10:11]
	ds_bpermute_b32 v10, v6, v2
	ds_bpermute_b32 v11, v6, v3
	;; [unrolled: 4-line block ×4, first 2 shown]
	s_waitcnt lgkmcnt(0)
	v_add_f64 v[2:3], v[2:3], v[10:11]
	s_cbranch_scc0 .LBB8_1
; %bb.2:
	v_mov_b32_e32 v4, s3
	v_add_co_u32_e32 v0, vcc, s2, v0
	v_addc_co_u32_e32 v1, vcc, v4, v1, vcc
	global_store_dwordx2 v[0:1], v[2:3], off
	s_endpgm
	.section	.rodata,"a",@progbits
	.p2align	6, 0x0
	.amdhsa_kernel _Z18warp_reduce_kernelILb0EdLj32ELj100EEvPKT0_PS0_
		.amdhsa_group_segment_fixed_size 0
		.amdhsa_private_segment_fixed_size 0
		.amdhsa_kernarg_size 272
		.amdhsa_user_sgpr_count 6
		.amdhsa_user_sgpr_private_segment_buffer 1
		.amdhsa_user_sgpr_dispatch_ptr 0
		.amdhsa_user_sgpr_queue_ptr 0
		.amdhsa_user_sgpr_kernarg_segment_ptr 1
		.amdhsa_user_sgpr_dispatch_id 0
		.amdhsa_user_sgpr_flat_scratch_init 0
		.amdhsa_user_sgpr_kernarg_preload_length 0
		.amdhsa_user_sgpr_kernarg_preload_offset 0
		.amdhsa_user_sgpr_private_segment_size 0
		.amdhsa_uses_dynamic_stack 0
		.amdhsa_system_sgpr_private_segment_wavefront_offset 0
		.amdhsa_system_sgpr_workgroup_id_x 1
		.amdhsa_system_sgpr_workgroup_id_y 0
		.amdhsa_system_sgpr_workgroup_id_z 0
		.amdhsa_system_sgpr_workgroup_info 0
		.amdhsa_system_vgpr_workitem_id 0
		.amdhsa_next_free_vgpr 12
		.amdhsa_next_free_sgpr 8
		.amdhsa_accum_offset 12
		.amdhsa_reserve_vcc 1
		.amdhsa_reserve_flat_scratch 0
		.amdhsa_float_round_mode_32 0
		.amdhsa_float_round_mode_16_64 0
		.amdhsa_float_denorm_mode_32 3
		.amdhsa_float_denorm_mode_16_64 3
		.amdhsa_dx10_clamp 1
		.amdhsa_ieee_mode 1
		.amdhsa_fp16_overflow 0
		.amdhsa_tg_split 0
		.amdhsa_exception_fp_ieee_invalid_op 0
		.amdhsa_exception_fp_denorm_src 0
		.amdhsa_exception_fp_ieee_div_zero 0
		.amdhsa_exception_fp_ieee_overflow 0
		.amdhsa_exception_fp_ieee_underflow 0
		.amdhsa_exception_fp_ieee_inexact 0
		.amdhsa_exception_int_div_zero 0
	.end_amdhsa_kernel
	.section	.text._Z18warp_reduce_kernelILb0EdLj32ELj100EEvPKT0_PS0_,"axG",@progbits,_Z18warp_reduce_kernelILb0EdLj32ELj100EEvPKT0_PS0_,comdat
.Lfunc_end8:
	.size	_Z18warp_reduce_kernelILb0EdLj32ELj100EEvPKT0_PS0_, .Lfunc_end8-_Z18warp_reduce_kernelILb0EdLj32ELj100EEvPKT0_PS0_
                                        ; -- End function
	.section	.AMDGPU.csdata,"",@progbits
; Kernel info:
; codeLenInByte = 380
; NumSgprs: 12
; NumVgprs: 12
; NumAgprs: 0
; TotalNumVgprs: 12
; ScratchSize: 0
; MemoryBound: 0
; FloatMode: 240
; IeeeMode: 1
; LDSByteSize: 0 bytes/workgroup (compile time only)
; SGPRBlocks: 1
; VGPRBlocks: 1
; NumSGPRsForWavesPerEU: 12
; NumVGPRsForWavesPerEU: 12
; AccumOffset: 12
; Occupancy: 8
; WaveLimiterHint : 0
; COMPUTE_PGM_RSRC2:SCRATCH_EN: 0
; COMPUTE_PGM_RSRC2:USER_SGPR: 6
; COMPUTE_PGM_RSRC2:TRAP_HANDLER: 0
; COMPUTE_PGM_RSRC2:TGID_X_EN: 1
; COMPUTE_PGM_RSRC2:TGID_Y_EN: 0
; COMPUTE_PGM_RSRC2:TGID_Z_EN: 0
; COMPUTE_PGM_RSRC2:TIDIG_COMP_CNT: 0
; COMPUTE_PGM_RSRC3_GFX90A:ACCUM_OFFSET: 2
; COMPUTE_PGM_RSRC3_GFX90A:TG_SPLIT: 0
	.section	.text._Z18warp_reduce_kernelILb0EdLj37ELj100EEvPKT0_PS0_,"axG",@progbits,_Z18warp_reduce_kernelILb0EdLj37ELj100EEvPKT0_PS0_,comdat
	.protected	_Z18warp_reduce_kernelILb0EdLj37ELj100EEvPKT0_PS0_ ; -- Begin function _Z18warp_reduce_kernelILb0EdLj37ELj100EEvPKT0_PS0_
	.globl	_Z18warp_reduce_kernelILb0EdLj37ELj100EEvPKT0_PS0_
	.p2align	8
	.type	_Z18warp_reduce_kernelILb0EdLj37ELj100EEvPKT0_PS0_,@function
_Z18warp_reduce_kernelILb0EdLj37ELj100EEvPKT0_PS0_: ; @_Z18warp_reduce_kernelILb0EdLj37ELj100EEvPKT0_PS0_
; %bb.0:
	s_load_dword s0, s[4:5], 0x1c
	s_load_dwordx4 s[8:11], s[4:5], 0x0
	v_mov_b32_e32 v1, 0
	s_movk_i32 s14, 0x64
	s_waitcnt lgkmcnt(0)
	s_and_b32 s0, s0, 0xffff
	s_mul_i32 s6, s6, s0
	v_add_u32_e32 v0, s6, v0
	v_lshlrev_b64 v[2:3], 3, v[0:1]
	v_mov_b32_e32 v0, s9
	v_add_co_u32_e32 v4, vcc, s8, v2
	v_addc_co_u32_e32 v5, vcc, v0, v3, vcc
	global_load_dwordx2 v[4:5], v[4:5], off
	v_mbcnt_lo_u32_b32 v0, -1, 0
	v_mbcnt_hi_u32_b32 v0, -1, v0
	s_mov_b32 s0, 0x6eb3e46
	v_mul_hi_u32 v6, v0, s0
	v_mul_u32_u24_e32 v6, 37, v6
	v_sub_u32_e32 v6, v0, v6
	v_lshlrev_b32_e32 v0, 3, v6
	v_cmp_gt_u32_e32 vcc, 5, v6
	v_cmp_gt_u32_e64 s[0:1], 16, v6
	v_cmp_gt_u32_e64 s[2:3], 8, v6
	;; [unrolled: 1-line block ×4, first 2 shown]
	v_cmp_eq_u32_e64 s[8:9], 0, v6
	s_branch .LBB9_2
.LBB9_1:                                ;   in Loop: Header=BB9_2 Depth=1
	s_or_b64 exec, exec, s[12:13]
	s_add_i32 s14, s14, -1
	s_cmp_eq_u32 s14, 0
	; wave barrier
	s_cbranch_scc1 .LBB9_26
.LBB9_2:                                ; =>This Inner Loop Header: Depth=1
	s_waitcnt vmcnt(0)
	ds_write_b64 v0, v[4:5]
	; wave barrier
	s_and_saveexec_b64 s[12:13], vcc
	s_cbranch_execz .LBB9_4
; %bb.3:                                ;   in Loop: Header=BB9_2 Depth=1
	ds_read2_b64 v[4:7], v0 offset1:32
	s_waitcnt lgkmcnt(0)
	v_add_f64 v[4:5], v[4:5], v[6:7]
.LBB9_4:                                ;   in Loop: Header=BB9_2 Depth=1
	s_or_b64 exec, exec, s[12:13]
	; wave barrier
	s_and_saveexec_b64 s[12:13], vcc
	s_cbranch_execz .LBB9_6
; %bb.5:                                ;   in Loop: Header=BB9_2 Depth=1
	ds_write_b64 v0, v[4:5]
.LBB9_6:                                ;   in Loop: Header=BB9_2 Depth=1
	s_or_b64 exec, exec, s[12:13]
	; wave barrier
	s_and_saveexec_b64 s[12:13], s[0:1]
	s_cbranch_execz .LBB9_8
; %bb.7:                                ;   in Loop: Header=BB9_2 Depth=1
	ds_read2_b64 v[4:7], v0 offset1:16
	s_waitcnt lgkmcnt(0)
	v_add_f64 v[4:5], v[4:5], v[6:7]
.LBB9_8:                                ;   in Loop: Header=BB9_2 Depth=1
	s_or_b64 exec, exec, s[12:13]
	; wave barrier
	s_and_saveexec_b64 s[12:13], s[0:1]
	s_cbranch_execz .LBB9_10
; %bb.9:                                ;   in Loop: Header=BB9_2 Depth=1
	ds_write_b64 v0, v[4:5]
.LBB9_10:                               ;   in Loop: Header=BB9_2 Depth=1
	s_or_b64 exec, exec, s[12:13]
	; wave barrier
	s_and_saveexec_b64 s[12:13], s[2:3]
	s_cbranch_execz .LBB9_12
; %bb.11:                               ;   in Loop: Header=BB9_2 Depth=1
	ds_read2_b64 v[4:7], v0 offset1:8
	s_waitcnt lgkmcnt(0)
	v_add_f64 v[4:5], v[4:5], v[6:7]
.LBB9_12:                               ;   in Loop: Header=BB9_2 Depth=1
	s_or_b64 exec, exec, s[12:13]
	; wave barrier
	s_and_saveexec_b64 s[12:13], s[2:3]
	s_cbranch_execz .LBB9_14
; %bb.13:                               ;   in Loop: Header=BB9_2 Depth=1
	ds_write_b64 v0, v[4:5]
.LBB9_14:                               ;   in Loop: Header=BB9_2 Depth=1
	s_or_b64 exec, exec, s[12:13]
	; wave barrier
	s_and_saveexec_b64 s[12:13], s[4:5]
	s_cbranch_execz .LBB9_16
; %bb.15:                               ;   in Loop: Header=BB9_2 Depth=1
	ds_read2_b64 v[4:7], v0 offset1:4
	s_waitcnt lgkmcnt(0)
	v_add_f64 v[4:5], v[4:5], v[6:7]
.LBB9_16:                               ;   in Loop: Header=BB9_2 Depth=1
	s_or_b64 exec, exec, s[12:13]
	; wave barrier
	s_and_saveexec_b64 s[12:13], s[4:5]
	s_cbranch_execz .LBB9_18
; %bb.17:                               ;   in Loop: Header=BB9_2 Depth=1
	ds_write_b64 v0, v[4:5]
.LBB9_18:                               ;   in Loop: Header=BB9_2 Depth=1
	;; [unrolled: 16-line block ×3, first 2 shown]
	s_or_b64 exec, exec, s[12:13]
	; wave barrier
	s_and_saveexec_b64 s[12:13], s[8:9]
	s_cbranch_execz .LBB9_24
; %bb.23:                               ;   in Loop: Header=BB9_2 Depth=1
	ds_read_b64 v[4:5], v0
	ds_read_b64 v[6:7], v1 offset:8
	s_waitcnt lgkmcnt(0)
	v_add_f64 v[4:5], v[4:5], v[6:7]
.LBB9_24:                               ;   in Loop: Header=BB9_2 Depth=1
	s_or_b64 exec, exec, s[12:13]
	; wave barrier
	s_and_saveexec_b64 s[12:13], s[8:9]
	s_cbranch_execz .LBB9_1
; %bb.25:                               ;   in Loop: Header=BB9_2 Depth=1
	ds_write_b64 v0, v[4:5]
	s_branch .LBB9_1
.LBB9_26:
	v_mov_b32_e32 v1, s11
	v_add_co_u32_e32 v0, vcc, s10, v2
	v_addc_co_u32_e32 v1, vcc, v1, v3, vcc
	global_store_dwordx2 v[0:1], v[4:5], off
	s_endpgm
	.section	.rodata,"a",@progbits
	.p2align	6, 0x0
	.amdhsa_kernel _Z18warp_reduce_kernelILb0EdLj37ELj100EEvPKT0_PS0_
		.amdhsa_group_segment_fixed_size 296
		.amdhsa_private_segment_fixed_size 0
		.amdhsa_kernarg_size 272
		.amdhsa_user_sgpr_count 6
		.amdhsa_user_sgpr_private_segment_buffer 1
		.amdhsa_user_sgpr_dispatch_ptr 0
		.amdhsa_user_sgpr_queue_ptr 0
		.amdhsa_user_sgpr_kernarg_segment_ptr 1
		.amdhsa_user_sgpr_dispatch_id 0
		.amdhsa_user_sgpr_flat_scratch_init 0
		.amdhsa_user_sgpr_kernarg_preload_length 0
		.amdhsa_user_sgpr_kernarg_preload_offset 0
		.amdhsa_user_sgpr_private_segment_size 0
		.amdhsa_uses_dynamic_stack 0
		.amdhsa_system_sgpr_private_segment_wavefront_offset 0
		.amdhsa_system_sgpr_workgroup_id_x 1
		.amdhsa_system_sgpr_workgroup_id_y 0
		.amdhsa_system_sgpr_workgroup_id_z 0
		.amdhsa_system_sgpr_workgroup_info 0
		.amdhsa_system_vgpr_workitem_id 0
		.amdhsa_next_free_vgpr 8
		.amdhsa_next_free_sgpr 15
		.amdhsa_accum_offset 8
		.amdhsa_reserve_vcc 1
		.amdhsa_reserve_flat_scratch 0
		.amdhsa_float_round_mode_32 0
		.amdhsa_float_round_mode_16_64 0
		.amdhsa_float_denorm_mode_32 3
		.amdhsa_float_denorm_mode_16_64 3
		.amdhsa_dx10_clamp 1
		.amdhsa_ieee_mode 1
		.amdhsa_fp16_overflow 0
		.amdhsa_tg_split 0
		.amdhsa_exception_fp_ieee_invalid_op 0
		.amdhsa_exception_fp_denorm_src 0
		.amdhsa_exception_fp_ieee_div_zero 0
		.amdhsa_exception_fp_ieee_overflow 0
		.amdhsa_exception_fp_ieee_underflow 0
		.amdhsa_exception_fp_ieee_inexact 0
		.amdhsa_exception_int_div_zero 0
	.end_amdhsa_kernel
	.section	.text._Z18warp_reduce_kernelILb0EdLj37ELj100EEvPKT0_PS0_,"axG",@progbits,_Z18warp_reduce_kernelILb0EdLj37ELj100EEvPKT0_PS0_,comdat
.Lfunc_end9:
	.size	_Z18warp_reduce_kernelILb0EdLj37ELj100EEvPKT0_PS0_, .Lfunc_end9-_Z18warp_reduce_kernelILb0EdLj37ELj100EEvPKT0_PS0_
                                        ; -- End function
	.section	.AMDGPU.csdata,"",@progbits
; Kernel info:
; codeLenInByte = 536
; NumSgprs: 19
; NumVgprs: 8
; NumAgprs: 0
; TotalNumVgprs: 8
; ScratchSize: 0
; MemoryBound: 0
; FloatMode: 240
; IeeeMode: 1
; LDSByteSize: 296 bytes/workgroup (compile time only)
; SGPRBlocks: 2
; VGPRBlocks: 0
; NumSGPRsForWavesPerEU: 19
; NumVGPRsForWavesPerEU: 8
; AccumOffset: 8
; Occupancy: 8
; WaveLimiterHint : 0
; COMPUTE_PGM_RSRC2:SCRATCH_EN: 0
; COMPUTE_PGM_RSRC2:USER_SGPR: 6
; COMPUTE_PGM_RSRC2:TRAP_HANDLER: 0
; COMPUTE_PGM_RSRC2:TGID_X_EN: 1
; COMPUTE_PGM_RSRC2:TGID_Y_EN: 0
; COMPUTE_PGM_RSRC2:TGID_Z_EN: 0
; COMPUTE_PGM_RSRC2:TIDIG_COMP_CNT: 0
; COMPUTE_PGM_RSRC3_GFX90A:ACCUM_OFFSET: 1
; COMPUTE_PGM_RSRC3_GFX90A:TG_SPLIT: 0
	.section	.text._Z18warp_reduce_kernelILb0EdLj61ELj100EEvPKT0_PS0_,"axG",@progbits,_Z18warp_reduce_kernelILb0EdLj61ELj100EEvPKT0_PS0_,comdat
	.protected	_Z18warp_reduce_kernelILb0EdLj61ELj100EEvPKT0_PS0_ ; -- Begin function _Z18warp_reduce_kernelILb0EdLj61ELj100EEvPKT0_PS0_
	.globl	_Z18warp_reduce_kernelILb0EdLj61ELj100EEvPKT0_PS0_
	.p2align	8
	.type	_Z18warp_reduce_kernelILb0EdLj61ELj100EEvPKT0_PS0_,@function
_Z18warp_reduce_kernelILb0EdLj61ELj100EEvPKT0_PS0_: ; @_Z18warp_reduce_kernelILb0EdLj61ELj100EEvPKT0_PS0_
; %bb.0:
	s_load_dword s0, s[4:5], 0x1c
	s_load_dwordx4 s[8:11], s[4:5], 0x0
	v_mov_b32_e32 v1, 0
	s_movk_i32 s14, 0x64
	s_waitcnt lgkmcnt(0)
	s_and_b32 s0, s0, 0xffff
	s_mul_i32 s6, s6, s0
	v_add_u32_e32 v0, s6, v0
	v_lshlrev_b64 v[2:3], 3, v[0:1]
	v_mov_b32_e32 v0, s9
	v_add_co_u32_e32 v4, vcc, s8, v2
	v_addc_co_u32_e32 v5, vcc, v0, v3, vcc
	global_load_dwordx2 v[4:5], v[4:5], off
	v_mbcnt_lo_u32_b32 v0, -1, 0
	v_mbcnt_hi_u32_b32 v0, -1, v0
	s_mov_b32 s0, 0x4325c54
	v_mul_hi_u32 v6, v0, s0
	v_mul_u32_u24_e32 v6, 61, v6
	v_sub_u32_e32 v6, v0, v6
	v_lshlrev_b32_e32 v0, 3, v6
	v_cmp_gt_u32_e32 vcc, 29, v6
	v_cmp_gt_u32_e64 s[0:1], 16, v6
	v_cmp_gt_u32_e64 s[2:3], 8, v6
	;; [unrolled: 1-line block ×4, first 2 shown]
	v_cmp_eq_u32_e64 s[8:9], 0, v6
	s_branch .LBB10_2
.LBB10_1:                               ;   in Loop: Header=BB10_2 Depth=1
	s_or_b64 exec, exec, s[12:13]
	s_add_i32 s14, s14, -1
	s_cmp_eq_u32 s14, 0
	; wave barrier
	s_cbranch_scc1 .LBB10_26
.LBB10_2:                               ; =>This Inner Loop Header: Depth=1
	s_waitcnt vmcnt(0)
	ds_write_b64 v0, v[4:5]
	; wave barrier
	s_and_saveexec_b64 s[12:13], vcc
	s_cbranch_execz .LBB10_4
; %bb.3:                                ;   in Loop: Header=BB10_2 Depth=1
	ds_read2_b64 v[4:7], v0 offset1:32
	s_waitcnt lgkmcnt(0)
	v_add_f64 v[4:5], v[4:5], v[6:7]
.LBB10_4:                               ;   in Loop: Header=BB10_2 Depth=1
	s_or_b64 exec, exec, s[12:13]
	; wave barrier
	s_and_saveexec_b64 s[12:13], vcc
	s_cbranch_execz .LBB10_6
; %bb.5:                                ;   in Loop: Header=BB10_2 Depth=1
	ds_write_b64 v0, v[4:5]
.LBB10_6:                               ;   in Loop: Header=BB10_2 Depth=1
	s_or_b64 exec, exec, s[12:13]
	; wave barrier
	s_and_saveexec_b64 s[12:13], s[0:1]
	s_cbranch_execz .LBB10_8
; %bb.7:                                ;   in Loop: Header=BB10_2 Depth=1
	ds_read2_b64 v[4:7], v0 offset1:16
	s_waitcnt lgkmcnt(0)
	v_add_f64 v[4:5], v[4:5], v[6:7]
.LBB10_8:                               ;   in Loop: Header=BB10_2 Depth=1
	s_or_b64 exec, exec, s[12:13]
	; wave barrier
	s_and_saveexec_b64 s[12:13], s[0:1]
	s_cbranch_execz .LBB10_10
; %bb.9:                                ;   in Loop: Header=BB10_2 Depth=1
	ds_write_b64 v0, v[4:5]
.LBB10_10:                              ;   in Loop: Header=BB10_2 Depth=1
	s_or_b64 exec, exec, s[12:13]
	; wave barrier
	s_and_saveexec_b64 s[12:13], s[2:3]
	s_cbranch_execz .LBB10_12
; %bb.11:                               ;   in Loop: Header=BB10_2 Depth=1
	ds_read2_b64 v[4:7], v0 offset1:8
	s_waitcnt lgkmcnt(0)
	v_add_f64 v[4:5], v[4:5], v[6:7]
.LBB10_12:                              ;   in Loop: Header=BB10_2 Depth=1
	s_or_b64 exec, exec, s[12:13]
	; wave barrier
	s_and_saveexec_b64 s[12:13], s[2:3]
	s_cbranch_execz .LBB10_14
; %bb.13:                               ;   in Loop: Header=BB10_2 Depth=1
	ds_write_b64 v0, v[4:5]
.LBB10_14:                              ;   in Loop: Header=BB10_2 Depth=1
	s_or_b64 exec, exec, s[12:13]
	; wave barrier
	s_and_saveexec_b64 s[12:13], s[4:5]
	s_cbranch_execz .LBB10_16
; %bb.15:                               ;   in Loop: Header=BB10_2 Depth=1
	ds_read2_b64 v[4:7], v0 offset1:4
	s_waitcnt lgkmcnt(0)
	v_add_f64 v[4:5], v[4:5], v[6:7]
.LBB10_16:                              ;   in Loop: Header=BB10_2 Depth=1
	s_or_b64 exec, exec, s[12:13]
	; wave barrier
	s_and_saveexec_b64 s[12:13], s[4:5]
	s_cbranch_execz .LBB10_18
; %bb.17:                               ;   in Loop: Header=BB10_2 Depth=1
	ds_write_b64 v0, v[4:5]
.LBB10_18:                              ;   in Loop: Header=BB10_2 Depth=1
	;; [unrolled: 16-line block ×3, first 2 shown]
	s_or_b64 exec, exec, s[12:13]
	; wave barrier
	s_and_saveexec_b64 s[12:13], s[8:9]
	s_cbranch_execz .LBB10_24
; %bb.23:                               ;   in Loop: Header=BB10_2 Depth=1
	ds_read_b64 v[4:5], v0
	ds_read_b64 v[6:7], v1 offset:8
	s_waitcnt lgkmcnt(0)
	v_add_f64 v[4:5], v[4:5], v[6:7]
.LBB10_24:                              ;   in Loop: Header=BB10_2 Depth=1
	s_or_b64 exec, exec, s[12:13]
	; wave barrier
	s_and_saveexec_b64 s[12:13], s[8:9]
	s_cbranch_execz .LBB10_1
; %bb.25:                               ;   in Loop: Header=BB10_2 Depth=1
	ds_write_b64 v0, v[4:5]
	s_branch .LBB10_1
.LBB10_26:
	v_mov_b32_e32 v1, s11
	v_add_co_u32_e32 v0, vcc, s10, v2
	v_addc_co_u32_e32 v1, vcc, v1, v3, vcc
	global_store_dwordx2 v[0:1], v[4:5], off
	s_endpgm
	.section	.rodata,"a",@progbits
	.p2align	6, 0x0
	.amdhsa_kernel _Z18warp_reduce_kernelILb0EdLj61ELj100EEvPKT0_PS0_
		.amdhsa_group_segment_fixed_size 488
		.amdhsa_private_segment_fixed_size 0
		.amdhsa_kernarg_size 272
		.amdhsa_user_sgpr_count 6
		.amdhsa_user_sgpr_private_segment_buffer 1
		.amdhsa_user_sgpr_dispatch_ptr 0
		.amdhsa_user_sgpr_queue_ptr 0
		.amdhsa_user_sgpr_kernarg_segment_ptr 1
		.amdhsa_user_sgpr_dispatch_id 0
		.amdhsa_user_sgpr_flat_scratch_init 0
		.amdhsa_user_sgpr_kernarg_preload_length 0
		.amdhsa_user_sgpr_kernarg_preload_offset 0
		.amdhsa_user_sgpr_private_segment_size 0
		.amdhsa_uses_dynamic_stack 0
		.amdhsa_system_sgpr_private_segment_wavefront_offset 0
		.amdhsa_system_sgpr_workgroup_id_x 1
		.amdhsa_system_sgpr_workgroup_id_y 0
		.amdhsa_system_sgpr_workgroup_id_z 0
		.amdhsa_system_sgpr_workgroup_info 0
		.amdhsa_system_vgpr_workitem_id 0
		.amdhsa_next_free_vgpr 8
		.amdhsa_next_free_sgpr 15
		.amdhsa_accum_offset 8
		.amdhsa_reserve_vcc 1
		.amdhsa_reserve_flat_scratch 0
		.amdhsa_float_round_mode_32 0
		.amdhsa_float_round_mode_16_64 0
		.amdhsa_float_denorm_mode_32 3
		.amdhsa_float_denorm_mode_16_64 3
		.amdhsa_dx10_clamp 1
		.amdhsa_ieee_mode 1
		.amdhsa_fp16_overflow 0
		.amdhsa_tg_split 0
		.amdhsa_exception_fp_ieee_invalid_op 0
		.amdhsa_exception_fp_denorm_src 0
		.amdhsa_exception_fp_ieee_div_zero 0
		.amdhsa_exception_fp_ieee_overflow 0
		.amdhsa_exception_fp_ieee_underflow 0
		.amdhsa_exception_fp_ieee_inexact 0
		.amdhsa_exception_int_div_zero 0
	.end_amdhsa_kernel
	.section	.text._Z18warp_reduce_kernelILb0EdLj61ELj100EEvPKT0_PS0_,"axG",@progbits,_Z18warp_reduce_kernelILb0EdLj61ELj100EEvPKT0_PS0_,comdat
.Lfunc_end10:
	.size	_Z18warp_reduce_kernelILb0EdLj61ELj100EEvPKT0_PS0_, .Lfunc_end10-_Z18warp_reduce_kernelILb0EdLj61ELj100EEvPKT0_PS0_
                                        ; -- End function
	.section	.AMDGPU.csdata,"",@progbits
; Kernel info:
; codeLenInByte = 536
; NumSgprs: 19
; NumVgprs: 8
; NumAgprs: 0
; TotalNumVgprs: 8
; ScratchSize: 0
; MemoryBound: 0
; FloatMode: 240
; IeeeMode: 1
; LDSByteSize: 488 bytes/workgroup (compile time only)
; SGPRBlocks: 2
; VGPRBlocks: 0
; NumSGPRsForWavesPerEU: 19
; NumVGPRsForWavesPerEU: 8
; AccumOffset: 8
; Occupancy: 8
; WaveLimiterHint : 0
; COMPUTE_PGM_RSRC2:SCRATCH_EN: 0
; COMPUTE_PGM_RSRC2:USER_SGPR: 6
; COMPUTE_PGM_RSRC2:TRAP_HANDLER: 0
; COMPUTE_PGM_RSRC2:TGID_X_EN: 1
; COMPUTE_PGM_RSRC2:TGID_Y_EN: 0
; COMPUTE_PGM_RSRC2:TGID_Z_EN: 0
; COMPUTE_PGM_RSRC2:TIDIG_COMP_CNT: 0
; COMPUTE_PGM_RSRC3_GFX90A:ACCUM_OFFSET: 1
; COMPUTE_PGM_RSRC3_GFX90A:TG_SPLIT: 0
	.section	.text._Z18warp_reduce_kernelILb0EdLj64ELj100EEvPKT0_PS0_,"axG",@progbits,_Z18warp_reduce_kernelILb0EdLj64ELj100EEvPKT0_PS0_,comdat
	.protected	_Z18warp_reduce_kernelILb0EdLj64ELj100EEvPKT0_PS0_ ; -- Begin function _Z18warp_reduce_kernelILb0EdLj64ELj100EEvPKT0_PS0_
	.globl	_Z18warp_reduce_kernelILb0EdLj64ELj100EEvPKT0_PS0_
	.p2align	8
	.type	_Z18warp_reduce_kernelILb0EdLj64ELj100EEvPKT0_PS0_,@function
_Z18warp_reduce_kernelILb0EdLj64ELj100EEvPKT0_PS0_: ; @_Z18warp_reduce_kernelILb0EdLj64ELj100EEvPKT0_PS0_
; %bb.0:
	s_load_dword s7, s[4:5], 0x1c
	s_load_dwordx4 s[0:3], s[4:5], 0x0
	v_mov_b32_e32 v1, 0
	v_mbcnt_lo_u32_b32 v4, -1, 0
	v_mbcnt_hi_u32_b32 v4, -1, v4
	s_waitcnt lgkmcnt(0)
	s_and_b32 s4, s7, 0xffff
	s_mul_i32 s6, s6, s4
	v_add_u32_e32 v0, s6, v0
	v_lshlrev_b64 v[0:1], 3, v[0:1]
	v_mov_b32_e32 v3, s1
	v_add_co_u32_e32 v2, vcc, s0, v0
	v_addc_co_u32_e32 v3, vcc, v3, v1, vcc
	global_load_dwordx2 v[2:3], v[2:3], off
	v_bfrev_b32_e32 v5, 0.5
	v_lshl_or_b32 v4, v4, 2, v5
	s_movk_i32 s0, 0x64
.LBB11_1:                               ; =>This Inner Loop Header: Depth=1
	s_waitcnt vmcnt(0) lgkmcnt(1)
	v_mov_b32_dpp v6, v2 quad_perm:[1,0,3,2] row_mask:0xf bank_mask:0xf
	s_waitcnt lgkmcnt(0)
	v_mov_b32_dpp v7, v3 quad_perm:[1,0,3,2] row_mask:0xf bank_mask:0xf
	v_add_f64 v[2:3], v[2:3], v[6:7]
	s_add_i32 s0, s0, -1
	s_cmp_eq_u32 s0, 0
	v_mov_b32_dpp v6, v2 quad_perm:[2,3,0,1] row_mask:0xf bank_mask:0xf
	v_mov_b32_dpp v7, v3 quad_perm:[2,3,0,1] row_mask:0xf bank_mask:0xf
	v_add_f64 v[2:3], v[2:3], v[6:7]
	s_nop 1
	v_mov_b32_dpp v6, v2 row_ror:4 row_mask:0xf bank_mask:0xf
	v_mov_b32_dpp v7, v3 row_ror:4 row_mask:0xf bank_mask:0xf
	v_add_f64 v[2:3], v[2:3], v[6:7]
	s_nop 1
	v_mov_b32_dpp v6, v2 row_ror:8 row_mask:0xf bank_mask:0xf
	v_mov_b32_dpp v7, v3 row_ror:8 row_mask:0xf bank_mask:0xf
	v_add_f64 v[2:3], v[2:3], v[6:7]
	s_nop 1
	v_mov_b32_dpp v6, v2 row_bcast:15 row_mask:0xf bank_mask:0xf
	v_mov_b32_dpp v7, v3 row_bcast:15 row_mask:0xf bank_mask:0xf
	v_add_f64 v[2:3], v[2:3], v[6:7]
	s_nop 1
	v_mov_b32_dpp v6, v2 row_bcast:31 row_mask:0xf bank_mask:0xf
	v_mov_b32_dpp v7, v3 row_bcast:31 row_mask:0xf bank_mask:0xf
	v_add_f64 v[2:3], v[2:3], v[6:7]
	ds_bpermute_b32 v2, v4, v2
	ds_bpermute_b32 v3, v4, v3
	s_cbranch_scc0 .LBB11_1
; %bb.2:
	v_mov_b32_e32 v4, s3
	v_add_co_u32_e32 v0, vcc, s2, v0
	v_addc_co_u32_e32 v1, vcc, v4, v1, vcc
	s_waitcnt lgkmcnt(0)
	global_store_dwordx2 v[0:1], v[2:3], off
	s_endpgm
	.section	.rodata,"a",@progbits
	.p2align	6, 0x0
	.amdhsa_kernel _Z18warp_reduce_kernelILb0EdLj64ELj100EEvPKT0_PS0_
		.amdhsa_group_segment_fixed_size 0
		.amdhsa_private_segment_fixed_size 0
		.amdhsa_kernarg_size 272
		.amdhsa_user_sgpr_count 6
		.amdhsa_user_sgpr_private_segment_buffer 1
		.amdhsa_user_sgpr_dispatch_ptr 0
		.amdhsa_user_sgpr_queue_ptr 0
		.amdhsa_user_sgpr_kernarg_segment_ptr 1
		.amdhsa_user_sgpr_dispatch_id 0
		.amdhsa_user_sgpr_flat_scratch_init 0
		.amdhsa_user_sgpr_kernarg_preload_length 0
		.amdhsa_user_sgpr_kernarg_preload_offset 0
		.amdhsa_user_sgpr_private_segment_size 0
		.amdhsa_uses_dynamic_stack 0
		.amdhsa_system_sgpr_private_segment_wavefront_offset 0
		.amdhsa_system_sgpr_workgroup_id_x 1
		.amdhsa_system_sgpr_workgroup_id_y 0
		.amdhsa_system_sgpr_workgroup_id_z 0
		.amdhsa_system_sgpr_workgroup_info 0
		.amdhsa_system_vgpr_workitem_id 0
		.amdhsa_next_free_vgpr 8
		.amdhsa_next_free_sgpr 8
		.amdhsa_accum_offset 8
		.amdhsa_reserve_vcc 1
		.amdhsa_reserve_flat_scratch 0
		.amdhsa_float_round_mode_32 0
		.amdhsa_float_round_mode_16_64 0
		.amdhsa_float_denorm_mode_32 3
		.amdhsa_float_denorm_mode_16_64 3
		.amdhsa_dx10_clamp 1
		.amdhsa_ieee_mode 1
		.amdhsa_fp16_overflow 0
		.amdhsa_tg_split 0
		.amdhsa_exception_fp_ieee_invalid_op 0
		.amdhsa_exception_fp_denorm_src 0
		.amdhsa_exception_fp_ieee_div_zero 0
		.amdhsa_exception_fp_ieee_overflow 0
		.amdhsa_exception_fp_ieee_underflow 0
		.amdhsa_exception_fp_ieee_inexact 0
		.amdhsa_exception_int_div_zero 0
	.end_amdhsa_kernel
	.section	.text._Z18warp_reduce_kernelILb0EdLj64ELj100EEvPKT0_PS0_,"axG",@progbits,_Z18warp_reduce_kernelILb0EdLj64ELj100EEvPKT0_PS0_,comdat
.Lfunc_end11:
	.size	_Z18warp_reduce_kernelILb0EdLj64ELj100EEvPKT0_PS0_, .Lfunc_end11-_Z18warp_reduce_kernelILb0EdLj64ELj100EEvPKT0_PS0_
                                        ; -- End function
	.section	.AMDGPU.csdata,"",@progbits
; Kernel info:
; codeLenInByte = 324
; NumSgprs: 12
; NumVgprs: 8
; NumAgprs: 0
; TotalNumVgprs: 8
; ScratchSize: 0
; MemoryBound: 0
; FloatMode: 240
; IeeeMode: 1
; LDSByteSize: 0 bytes/workgroup (compile time only)
; SGPRBlocks: 1
; VGPRBlocks: 0
; NumSGPRsForWavesPerEU: 12
; NumVGPRsForWavesPerEU: 8
; AccumOffset: 8
; Occupancy: 8
; WaveLimiterHint : 0
; COMPUTE_PGM_RSRC2:SCRATCH_EN: 0
; COMPUTE_PGM_RSRC2:USER_SGPR: 6
; COMPUTE_PGM_RSRC2:TRAP_HANDLER: 0
; COMPUTE_PGM_RSRC2:TGID_X_EN: 1
; COMPUTE_PGM_RSRC2:TGID_Y_EN: 0
; COMPUTE_PGM_RSRC2:TGID_Z_EN: 0
; COMPUTE_PGM_RSRC2:TIDIG_COMP_CNT: 0
; COMPUTE_PGM_RSRC3_GFX90A:ACCUM_OFFSET: 1
; COMPUTE_PGM_RSRC3_GFX90A:TG_SPLIT: 0
	.section	.text._Z18warp_reduce_kernelILb0EaLj32ELj100EEvPKT0_PS0_,"axG",@progbits,_Z18warp_reduce_kernelILb0EaLj32ELj100EEvPKT0_PS0_,comdat
	.protected	_Z18warp_reduce_kernelILb0EaLj32ELj100EEvPKT0_PS0_ ; -- Begin function _Z18warp_reduce_kernelILb0EaLj32ELj100EEvPKT0_PS0_
	.globl	_Z18warp_reduce_kernelILb0EaLj32ELj100EEvPKT0_PS0_
	.p2align	8
	.type	_Z18warp_reduce_kernelILb0EaLj32ELj100EEvPKT0_PS0_,@function
_Z18warp_reduce_kernelILb0EaLj32ELj100EEvPKT0_PS0_: ; @_Z18warp_reduce_kernelILb0EaLj32ELj100EEvPKT0_PS0_
; %bb.0:
	s_load_dword s7, s[4:5], 0x1c
	s_load_dwordx4 s[0:3], s[4:5], 0x0
	v_mbcnt_lo_u32_b32 v1, -1, 0
	v_mbcnt_hi_u32_b32 v6, -1, v1
	v_and_b32_e32 v7, 31, v6
	s_waitcnt lgkmcnt(0)
	s_and_b32 s4, s7, 0xffff
	s_mul_i32 s6, s6, s4
	v_add_u32_e32 v0, s6, v0
	global_load_ubyte v2, v0, s[0:1]
	v_cmp_ne_u32_e32 vcc, 31, v7
	v_addc_co_u32_e32 v1, vcc, 0, v6, vcc
	v_cmp_gt_u32_e32 vcc, 30, v7
	v_cndmask_b32_e64 v3, 0, 1, vcc
	v_cmp_gt_u32_e32 vcc, 28, v7
	v_cndmask_b32_e64 v4, 0, 1, vcc
	;; [unrolled: 2-line block ×4, first 2 shown]
	v_lshlrev_b32_e32 v3, 1, v3
	v_lshlrev_b32_e32 v4, 2, v4
	;; [unrolled: 1-line block ×5, first 2 shown]
	v_add_lshl_u32 v3, v3, v6, 2
	v_add_lshl_u32 v4, v4, v6, 2
	;; [unrolled: 1-line block ×4, first 2 shown]
	s_movk_i32 s0, 0x64
.LBB12_1:                               ; =>This Inner Loop Header: Depth=1
	s_waitcnt vmcnt(0)
	v_and_b32_e32 v7, 0xff, v2
	ds_bpermute_b32 v7, v1, v7
	s_add_i32 s0, s0, -1
	s_cmp_eq_u32 s0, 0
	s_waitcnt lgkmcnt(0)
	v_add_u16_e32 v2, v2, v7
	v_and_b32_e32 v7, 0xff, v2
	ds_bpermute_b32 v7, v3, v7
	s_waitcnt lgkmcnt(0)
	v_add_u16_e32 v2, v2, v7
	v_and_b32_e32 v7, 0xff, v2
	ds_bpermute_b32 v7, v4, v7
	;; [unrolled: 4-line block ×4, first 2 shown]
	s_waitcnt lgkmcnt(0)
	v_add_u16_e32 v2, v2, v7
	s_cbranch_scc0 .LBB12_1
; %bb.2:
	v_mov_b32_e32 v1, s3
	v_add_co_u32_e32 v0, vcc, s2, v0
	v_addc_co_u32_e32 v1, vcc, 0, v1, vcc
	global_store_byte v[0:1], v2, off
	s_endpgm
	.section	.rodata,"a",@progbits
	.p2align	6, 0x0
	.amdhsa_kernel _Z18warp_reduce_kernelILb0EaLj32ELj100EEvPKT0_PS0_
		.amdhsa_group_segment_fixed_size 0
		.amdhsa_private_segment_fixed_size 0
		.amdhsa_kernarg_size 272
		.amdhsa_user_sgpr_count 6
		.amdhsa_user_sgpr_private_segment_buffer 1
		.amdhsa_user_sgpr_dispatch_ptr 0
		.amdhsa_user_sgpr_queue_ptr 0
		.amdhsa_user_sgpr_kernarg_segment_ptr 1
		.amdhsa_user_sgpr_dispatch_id 0
		.amdhsa_user_sgpr_flat_scratch_init 0
		.amdhsa_user_sgpr_kernarg_preload_length 0
		.amdhsa_user_sgpr_kernarg_preload_offset 0
		.amdhsa_user_sgpr_private_segment_size 0
		.amdhsa_uses_dynamic_stack 0
		.amdhsa_system_sgpr_private_segment_wavefront_offset 0
		.amdhsa_system_sgpr_workgroup_id_x 1
		.amdhsa_system_sgpr_workgroup_id_y 0
		.amdhsa_system_sgpr_workgroup_id_z 0
		.amdhsa_system_sgpr_workgroup_info 0
		.amdhsa_system_vgpr_workitem_id 0
		.amdhsa_next_free_vgpr 8
		.amdhsa_next_free_sgpr 8
		.amdhsa_accum_offset 8
		.amdhsa_reserve_vcc 1
		.amdhsa_reserve_flat_scratch 0
		.amdhsa_float_round_mode_32 0
		.amdhsa_float_round_mode_16_64 0
		.amdhsa_float_denorm_mode_32 3
		.amdhsa_float_denorm_mode_16_64 3
		.amdhsa_dx10_clamp 1
		.amdhsa_ieee_mode 1
		.amdhsa_fp16_overflow 0
		.amdhsa_tg_split 0
		.amdhsa_exception_fp_ieee_invalid_op 0
		.amdhsa_exception_fp_denorm_src 0
		.amdhsa_exception_fp_ieee_div_zero 0
		.amdhsa_exception_fp_ieee_overflow 0
		.amdhsa_exception_fp_ieee_underflow 0
		.amdhsa_exception_fp_ieee_inexact 0
		.amdhsa_exception_int_div_zero 0
	.end_amdhsa_kernel
	.section	.text._Z18warp_reduce_kernelILb0EaLj32ELj100EEvPKT0_PS0_,"axG",@progbits,_Z18warp_reduce_kernelILb0EaLj32ELj100EEvPKT0_PS0_,comdat
.Lfunc_end12:
	.size	_Z18warp_reduce_kernelILb0EaLj32ELj100EEvPKT0_PS0_, .Lfunc_end12-_Z18warp_reduce_kernelILb0EaLj32ELj100EEvPKT0_PS0_
                                        ; -- End function
	.section	.AMDGPU.csdata,"",@progbits
; Kernel info:
; codeLenInByte = 336
; NumSgprs: 12
; NumVgprs: 8
; NumAgprs: 0
; TotalNumVgprs: 8
; ScratchSize: 0
; MemoryBound: 0
; FloatMode: 240
; IeeeMode: 1
; LDSByteSize: 0 bytes/workgroup (compile time only)
; SGPRBlocks: 1
; VGPRBlocks: 0
; NumSGPRsForWavesPerEU: 12
; NumVGPRsForWavesPerEU: 8
; AccumOffset: 8
; Occupancy: 8
; WaveLimiterHint : 0
; COMPUTE_PGM_RSRC2:SCRATCH_EN: 0
; COMPUTE_PGM_RSRC2:USER_SGPR: 6
; COMPUTE_PGM_RSRC2:TRAP_HANDLER: 0
; COMPUTE_PGM_RSRC2:TGID_X_EN: 1
; COMPUTE_PGM_RSRC2:TGID_Y_EN: 0
; COMPUTE_PGM_RSRC2:TGID_Z_EN: 0
; COMPUTE_PGM_RSRC2:TIDIG_COMP_CNT: 0
; COMPUTE_PGM_RSRC3_GFX90A:ACCUM_OFFSET: 1
; COMPUTE_PGM_RSRC3_GFX90A:TG_SPLIT: 0
	.section	.text._Z18warp_reduce_kernelILb0EaLj37ELj100EEvPKT0_PS0_,"axG",@progbits,_Z18warp_reduce_kernelILb0EaLj37ELj100EEvPKT0_PS0_,comdat
	.protected	_Z18warp_reduce_kernelILb0EaLj37ELj100EEvPKT0_PS0_ ; -- Begin function _Z18warp_reduce_kernelILb0EaLj37ELj100EEvPKT0_PS0_
	.globl	_Z18warp_reduce_kernelILb0EaLj37ELj100EEvPKT0_PS0_
	.p2align	8
	.type	_Z18warp_reduce_kernelILb0EaLj37ELj100EEvPKT0_PS0_,@function
_Z18warp_reduce_kernelILb0EaLj37ELj100EEvPKT0_PS0_: ; @_Z18warp_reduce_kernelILb0EaLj37ELj100EEvPKT0_PS0_
; %bb.0:
	s_load_dword s0, s[4:5], 0x1c
	s_load_dwordx4 s[8:11], s[4:5], 0x0
	v_mbcnt_lo_u32_b32 v2, -1, 0
	v_mbcnt_hi_u32_b32 v2, -1, v2
	v_mov_b32_e32 v1, 0
	s_waitcnt lgkmcnt(0)
	s_and_b32 s0, s0, 0xffff
	s_mul_i32 s6, s6, s0
	v_add_u32_e32 v0, s6, v0
	global_load_ubyte v3, v0, s[8:9]
	s_mov_b32 s0, 0x6eb3e46
	v_mul_hi_u32 v4, v2, s0
	v_mul_u32_u24_e32 v4, 37, v4
	v_sub_u32_e32 v2, v2, v4
	v_cmp_gt_u32_e32 vcc, 5, v2
	v_cmp_gt_u32_e64 s[0:1], 16, v2
	v_cmp_gt_u32_e64 s[2:3], 8, v2
	;; [unrolled: 1-line block ×4, first 2 shown]
	v_cmp_eq_u32_e64 s[8:9], 0, v2
	s_movk_i32 s14, 0x64
	s_branch .LBB13_2
.LBB13_1:                               ;   in Loop: Header=BB13_2 Depth=1
	s_or_b64 exec, exec, s[12:13]
	s_add_i32 s14, s14, -1
	s_cmp_eq_u32 s14, 0
	; wave barrier
	s_cbranch_scc1 .LBB13_26
.LBB13_2:                               ; =>This Inner Loop Header: Depth=1
	s_waitcnt vmcnt(0)
	ds_write_b8 v2, v3
	; wave barrier
	s_and_saveexec_b64 s[12:13], vcc
	s_cbranch_execz .LBB13_4
; %bb.3:                                ;   in Loop: Header=BB13_2 Depth=1
	ds_read_u8 v3, v2
	ds_read_u8 v4, v2 offset:32
	s_waitcnt lgkmcnt(0)
	v_add_u16_e32 v3, v4, v3
.LBB13_4:                               ;   in Loop: Header=BB13_2 Depth=1
	s_or_b64 exec, exec, s[12:13]
	; wave barrier
	s_and_saveexec_b64 s[12:13], vcc
	s_cbranch_execz .LBB13_6
; %bb.5:                                ;   in Loop: Header=BB13_2 Depth=1
	ds_write_b8 v2, v3
.LBB13_6:                               ;   in Loop: Header=BB13_2 Depth=1
	s_or_b64 exec, exec, s[12:13]
	; wave barrier
	s_and_saveexec_b64 s[12:13], s[0:1]
	s_cbranch_execz .LBB13_8
; %bb.7:                                ;   in Loop: Header=BB13_2 Depth=1
	ds_read_u8 v3, v2
	ds_read_u8 v4, v2 offset:16
	s_waitcnt lgkmcnt(0)
	v_add_u16_e32 v3, v4, v3
.LBB13_8:                               ;   in Loop: Header=BB13_2 Depth=1
	s_or_b64 exec, exec, s[12:13]
	; wave barrier
	s_and_saveexec_b64 s[12:13], s[0:1]
	s_cbranch_execz .LBB13_10
; %bb.9:                                ;   in Loop: Header=BB13_2 Depth=1
	ds_write_b8 v2, v3
.LBB13_10:                              ;   in Loop: Header=BB13_2 Depth=1
	s_or_b64 exec, exec, s[12:13]
	; wave barrier
	s_and_saveexec_b64 s[12:13], s[2:3]
	s_cbranch_execz .LBB13_12
; %bb.11:                               ;   in Loop: Header=BB13_2 Depth=1
	ds_read_u8 v3, v2
	ds_read_u8 v4, v2 offset:8
	s_waitcnt lgkmcnt(0)
	v_add_u16_e32 v3, v4, v3
.LBB13_12:                              ;   in Loop: Header=BB13_2 Depth=1
	s_or_b64 exec, exec, s[12:13]
	; wave barrier
	s_and_saveexec_b64 s[12:13], s[2:3]
	s_cbranch_execz .LBB13_14
; %bb.13:                               ;   in Loop: Header=BB13_2 Depth=1
	ds_write_b8 v2, v3
.LBB13_14:                              ;   in Loop: Header=BB13_2 Depth=1
	s_or_b64 exec, exec, s[12:13]
	; wave barrier
	s_and_saveexec_b64 s[12:13], s[4:5]
	s_cbranch_execz .LBB13_16
; %bb.15:                               ;   in Loop: Header=BB13_2 Depth=1
	ds_read_u8 v3, v2
	ds_read_u8 v4, v2 offset:4
	s_waitcnt lgkmcnt(0)
	v_add_u16_e32 v3, v4, v3
.LBB13_16:                              ;   in Loop: Header=BB13_2 Depth=1
	s_or_b64 exec, exec, s[12:13]
	; wave barrier
	s_and_saveexec_b64 s[12:13], s[4:5]
	s_cbranch_execz .LBB13_18
; %bb.17:                               ;   in Loop: Header=BB13_2 Depth=1
	ds_write_b8 v2, v3
.LBB13_18:                              ;   in Loop: Header=BB13_2 Depth=1
	s_or_b64 exec, exec, s[12:13]
	; wave barrier
	s_and_saveexec_b64 s[12:13], s[6:7]
	s_cbranch_execz .LBB13_20
; %bb.19:                               ;   in Loop: Header=BB13_2 Depth=1
	ds_read_u8 v3, v2
	ds_read_u8 v4, v2 offset:2
	s_waitcnt lgkmcnt(0)
	v_add_u16_e32 v3, v4, v3
.LBB13_20:                              ;   in Loop: Header=BB13_2 Depth=1
	s_or_b64 exec, exec, s[12:13]
	; wave barrier
	s_and_saveexec_b64 s[12:13], s[6:7]
	s_cbranch_execz .LBB13_22
; %bb.21:                               ;   in Loop: Header=BB13_2 Depth=1
	ds_write_b8 v2, v3
.LBB13_22:                              ;   in Loop: Header=BB13_2 Depth=1
	s_or_b64 exec, exec, s[12:13]
	; wave barrier
	s_and_saveexec_b64 s[12:13], s[8:9]
	s_cbranch_execz .LBB13_24
; %bb.23:                               ;   in Loop: Header=BB13_2 Depth=1
	ds_read_u8 v3, v2
	ds_read_u8 v4, v1 offset:1
	s_waitcnt lgkmcnt(0)
	v_add_u16_e32 v3, v4, v3
.LBB13_24:                              ;   in Loop: Header=BB13_2 Depth=1
	s_or_b64 exec, exec, s[12:13]
	; wave barrier
	s_and_saveexec_b64 s[12:13], s[8:9]
	s_cbranch_execz .LBB13_1
; %bb.25:                               ;   in Loop: Header=BB13_2 Depth=1
	ds_write_b8 v2, v3
	s_branch .LBB13_1
.LBB13_26:
	v_mov_b32_e32 v1, s11
	v_add_co_u32_e32 v0, vcc, s10, v0
	v_addc_co_u32_e32 v1, vcc, 0, v1, vcc
	global_store_byte v[0:1], v3, off
	s_endpgm
	.section	.rodata,"a",@progbits
	.p2align	6, 0x0
	.amdhsa_kernel _Z18warp_reduce_kernelILb0EaLj37ELj100EEvPKT0_PS0_
		.amdhsa_group_segment_fixed_size 37
		.amdhsa_private_segment_fixed_size 0
		.amdhsa_kernarg_size 272
		.amdhsa_user_sgpr_count 6
		.amdhsa_user_sgpr_private_segment_buffer 1
		.amdhsa_user_sgpr_dispatch_ptr 0
		.amdhsa_user_sgpr_queue_ptr 0
		.amdhsa_user_sgpr_kernarg_segment_ptr 1
		.amdhsa_user_sgpr_dispatch_id 0
		.amdhsa_user_sgpr_flat_scratch_init 0
		.amdhsa_user_sgpr_kernarg_preload_length 0
		.amdhsa_user_sgpr_kernarg_preload_offset 0
		.amdhsa_user_sgpr_private_segment_size 0
		.amdhsa_uses_dynamic_stack 0
		.amdhsa_system_sgpr_private_segment_wavefront_offset 0
		.amdhsa_system_sgpr_workgroup_id_x 1
		.amdhsa_system_sgpr_workgroup_id_y 0
		.amdhsa_system_sgpr_workgroup_id_z 0
		.amdhsa_system_sgpr_workgroup_info 0
		.amdhsa_system_vgpr_workitem_id 0
		.amdhsa_next_free_vgpr 5
		.amdhsa_next_free_sgpr 15
		.amdhsa_accum_offset 8
		.amdhsa_reserve_vcc 1
		.amdhsa_reserve_flat_scratch 0
		.amdhsa_float_round_mode_32 0
		.amdhsa_float_round_mode_16_64 0
		.amdhsa_float_denorm_mode_32 3
		.amdhsa_float_denorm_mode_16_64 3
		.amdhsa_dx10_clamp 1
		.amdhsa_ieee_mode 1
		.amdhsa_fp16_overflow 0
		.amdhsa_tg_split 0
		.amdhsa_exception_fp_ieee_invalid_op 0
		.amdhsa_exception_fp_denorm_src 0
		.amdhsa_exception_fp_ieee_div_zero 0
		.amdhsa_exception_fp_ieee_overflow 0
		.amdhsa_exception_fp_ieee_underflow 0
		.amdhsa_exception_fp_ieee_inexact 0
		.amdhsa_exception_int_div_zero 0
	.end_amdhsa_kernel
	.section	.text._Z18warp_reduce_kernelILb0EaLj37ELj100EEvPKT0_PS0_,"axG",@progbits,_Z18warp_reduce_kernelILb0EaLj37ELj100EEvPKT0_PS0_,comdat
.Lfunc_end13:
	.size	_Z18warp_reduce_kernelILb0EaLj37ELj100EEvPKT0_PS0_, .Lfunc_end13-_Z18warp_reduce_kernelILb0EaLj37ELj100EEvPKT0_PS0_
                                        ; -- End function
	.section	.AMDGPU.csdata,"",@progbits
; Kernel info:
; codeLenInByte = 528
; NumSgprs: 19
; NumVgprs: 5
; NumAgprs: 0
; TotalNumVgprs: 5
; ScratchSize: 0
; MemoryBound: 0
; FloatMode: 240
; IeeeMode: 1
; LDSByteSize: 37 bytes/workgroup (compile time only)
; SGPRBlocks: 2
; VGPRBlocks: 0
; NumSGPRsForWavesPerEU: 19
; NumVGPRsForWavesPerEU: 5
; AccumOffset: 8
; Occupancy: 8
; WaveLimiterHint : 0
; COMPUTE_PGM_RSRC2:SCRATCH_EN: 0
; COMPUTE_PGM_RSRC2:USER_SGPR: 6
; COMPUTE_PGM_RSRC2:TRAP_HANDLER: 0
; COMPUTE_PGM_RSRC2:TGID_X_EN: 1
; COMPUTE_PGM_RSRC2:TGID_Y_EN: 0
; COMPUTE_PGM_RSRC2:TGID_Z_EN: 0
; COMPUTE_PGM_RSRC2:TIDIG_COMP_CNT: 0
; COMPUTE_PGM_RSRC3_GFX90A:ACCUM_OFFSET: 1
; COMPUTE_PGM_RSRC3_GFX90A:TG_SPLIT: 0
	.section	.text._Z18warp_reduce_kernelILb0EaLj61ELj100EEvPKT0_PS0_,"axG",@progbits,_Z18warp_reduce_kernelILb0EaLj61ELj100EEvPKT0_PS0_,comdat
	.protected	_Z18warp_reduce_kernelILb0EaLj61ELj100EEvPKT0_PS0_ ; -- Begin function _Z18warp_reduce_kernelILb0EaLj61ELj100EEvPKT0_PS0_
	.globl	_Z18warp_reduce_kernelILb0EaLj61ELj100EEvPKT0_PS0_
	.p2align	8
	.type	_Z18warp_reduce_kernelILb0EaLj61ELj100EEvPKT0_PS0_,@function
_Z18warp_reduce_kernelILb0EaLj61ELj100EEvPKT0_PS0_: ; @_Z18warp_reduce_kernelILb0EaLj61ELj100EEvPKT0_PS0_
; %bb.0:
	s_load_dword s0, s[4:5], 0x1c
	s_load_dwordx4 s[8:11], s[4:5], 0x0
	v_mbcnt_lo_u32_b32 v2, -1, 0
	v_mbcnt_hi_u32_b32 v2, -1, v2
	v_mov_b32_e32 v1, 0
	s_waitcnt lgkmcnt(0)
	s_and_b32 s0, s0, 0xffff
	s_mul_i32 s6, s6, s0
	v_add_u32_e32 v0, s6, v0
	global_load_ubyte v3, v0, s[8:9]
	s_mov_b32 s0, 0x4325c54
	v_mul_hi_u32 v4, v2, s0
	v_mul_u32_u24_e32 v4, 61, v4
	v_sub_u32_e32 v2, v2, v4
	v_cmp_gt_u32_e32 vcc, 29, v2
	v_cmp_gt_u32_e64 s[0:1], 16, v2
	v_cmp_gt_u32_e64 s[2:3], 8, v2
	;; [unrolled: 1-line block ×4, first 2 shown]
	v_cmp_eq_u32_e64 s[8:9], 0, v2
	s_movk_i32 s14, 0x64
	s_branch .LBB14_2
.LBB14_1:                               ;   in Loop: Header=BB14_2 Depth=1
	s_or_b64 exec, exec, s[12:13]
	s_add_i32 s14, s14, -1
	s_cmp_eq_u32 s14, 0
	; wave barrier
	s_cbranch_scc1 .LBB14_26
.LBB14_2:                               ; =>This Inner Loop Header: Depth=1
	s_waitcnt vmcnt(0)
	ds_write_b8 v2, v3
	; wave barrier
	s_and_saveexec_b64 s[12:13], vcc
	s_cbranch_execz .LBB14_4
; %bb.3:                                ;   in Loop: Header=BB14_2 Depth=1
	ds_read_u8 v3, v2
	ds_read_u8 v4, v2 offset:32
	s_waitcnt lgkmcnt(0)
	v_add_u16_e32 v3, v4, v3
.LBB14_4:                               ;   in Loop: Header=BB14_2 Depth=1
	s_or_b64 exec, exec, s[12:13]
	; wave barrier
	s_and_saveexec_b64 s[12:13], vcc
	s_cbranch_execz .LBB14_6
; %bb.5:                                ;   in Loop: Header=BB14_2 Depth=1
	ds_write_b8 v2, v3
.LBB14_6:                               ;   in Loop: Header=BB14_2 Depth=1
	s_or_b64 exec, exec, s[12:13]
	; wave barrier
	s_and_saveexec_b64 s[12:13], s[0:1]
	s_cbranch_execz .LBB14_8
; %bb.7:                                ;   in Loop: Header=BB14_2 Depth=1
	ds_read_u8 v3, v2
	ds_read_u8 v4, v2 offset:16
	s_waitcnt lgkmcnt(0)
	v_add_u16_e32 v3, v4, v3
.LBB14_8:                               ;   in Loop: Header=BB14_2 Depth=1
	s_or_b64 exec, exec, s[12:13]
	; wave barrier
	s_and_saveexec_b64 s[12:13], s[0:1]
	s_cbranch_execz .LBB14_10
; %bb.9:                                ;   in Loop: Header=BB14_2 Depth=1
	ds_write_b8 v2, v3
.LBB14_10:                              ;   in Loop: Header=BB14_2 Depth=1
	s_or_b64 exec, exec, s[12:13]
	; wave barrier
	s_and_saveexec_b64 s[12:13], s[2:3]
	s_cbranch_execz .LBB14_12
; %bb.11:                               ;   in Loop: Header=BB14_2 Depth=1
	ds_read_u8 v3, v2
	ds_read_u8 v4, v2 offset:8
	s_waitcnt lgkmcnt(0)
	v_add_u16_e32 v3, v4, v3
.LBB14_12:                              ;   in Loop: Header=BB14_2 Depth=1
	s_or_b64 exec, exec, s[12:13]
	; wave barrier
	s_and_saveexec_b64 s[12:13], s[2:3]
	s_cbranch_execz .LBB14_14
; %bb.13:                               ;   in Loop: Header=BB14_2 Depth=1
	ds_write_b8 v2, v3
.LBB14_14:                              ;   in Loop: Header=BB14_2 Depth=1
	s_or_b64 exec, exec, s[12:13]
	; wave barrier
	s_and_saveexec_b64 s[12:13], s[4:5]
	s_cbranch_execz .LBB14_16
; %bb.15:                               ;   in Loop: Header=BB14_2 Depth=1
	ds_read_u8 v3, v2
	ds_read_u8 v4, v2 offset:4
	s_waitcnt lgkmcnt(0)
	v_add_u16_e32 v3, v4, v3
.LBB14_16:                              ;   in Loop: Header=BB14_2 Depth=1
	s_or_b64 exec, exec, s[12:13]
	; wave barrier
	s_and_saveexec_b64 s[12:13], s[4:5]
	s_cbranch_execz .LBB14_18
; %bb.17:                               ;   in Loop: Header=BB14_2 Depth=1
	ds_write_b8 v2, v3
.LBB14_18:                              ;   in Loop: Header=BB14_2 Depth=1
	;; [unrolled: 17-line block ×3, first 2 shown]
	s_or_b64 exec, exec, s[12:13]
	; wave barrier
	s_and_saveexec_b64 s[12:13], s[8:9]
	s_cbranch_execz .LBB14_24
; %bb.23:                               ;   in Loop: Header=BB14_2 Depth=1
	ds_read_u8 v3, v2
	ds_read_u8 v4, v1 offset:1
	s_waitcnt lgkmcnt(0)
	v_add_u16_e32 v3, v4, v3
.LBB14_24:                              ;   in Loop: Header=BB14_2 Depth=1
	s_or_b64 exec, exec, s[12:13]
	; wave barrier
	s_and_saveexec_b64 s[12:13], s[8:9]
	s_cbranch_execz .LBB14_1
; %bb.25:                               ;   in Loop: Header=BB14_2 Depth=1
	ds_write_b8 v2, v3
	s_branch .LBB14_1
.LBB14_26:
	v_mov_b32_e32 v1, s11
	v_add_co_u32_e32 v0, vcc, s10, v0
	v_addc_co_u32_e32 v1, vcc, 0, v1, vcc
	global_store_byte v[0:1], v3, off
	s_endpgm
	.section	.rodata,"a",@progbits
	.p2align	6, 0x0
	.amdhsa_kernel _Z18warp_reduce_kernelILb0EaLj61ELj100EEvPKT0_PS0_
		.amdhsa_group_segment_fixed_size 61
		.amdhsa_private_segment_fixed_size 0
		.amdhsa_kernarg_size 272
		.amdhsa_user_sgpr_count 6
		.amdhsa_user_sgpr_private_segment_buffer 1
		.amdhsa_user_sgpr_dispatch_ptr 0
		.amdhsa_user_sgpr_queue_ptr 0
		.amdhsa_user_sgpr_kernarg_segment_ptr 1
		.amdhsa_user_sgpr_dispatch_id 0
		.amdhsa_user_sgpr_flat_scratch_init 0
		.amdhsa_user_sgpr_kernarg_preload_length 0
		.amdhsa_user_sgpr_kernarg_preload_offset 0
		.amdhsa_user_sgpr_private_segment_size 0
		.amdhsa_uses_dynamic_stack 0
		.amdhsa_system_sgpr_private_segment_wavefront_offset 0
		.amdhsa_system_sgpr_workgroup_id_x 1
		.amdhsa_system_sgpr_workgroup_id_y 0
		.amdhsa_system_sgpr_workgroup_id_z 0
		.amdhsa_system_sgpr_workgroup_info 0
		.amdhsa_system_vgpr_workitem_id 0
		.amdhsa_next_free_vgpr 5
		.amdhsa_next_free_sgpr 15
		.amdhsa_accum_offset 8
		.amdhsa_reserve_vcc 1
		.amdhsa_reserve_flat_scratch 0
		.amdhsa_float_round_mode_32 0
		.amdhsa_float_round_mode_16_64 0
		.amdhsa_float_denorm_mode_32 3
		.amdhsa_float_denorm_mode_16_64 3
		.amdhsa_dx10_clamp 1
		.amdhsa_ieee_mode 1
		.amdhsa_fp16_overflow 0
		.amdhsa_tg_split 0
		.amdhsa_exception_fp_ieee_invalid_op 0
		.amdhsa_exception_fp_denorm_src 0
		.amdhsa_exception_fp_ieee_div_zero 0
		.amdhsa_exception_fp_ieee_overflow 0
		.amdhsa_exception_fp_ieee_underflow 0
		.amdhsa_exception_fp_ieee_inexact 0
		.amdhsa_exception_int_div_zero 0
	.end_amdhsa_kernel
	.section	.text._Z18warp_reduce_kernelILb0EaLj61ELj100EEvPKT0_PS0_,"axG",@progbits,_Z18warp_reduce_kernelILb0EaLj61ELj100EEvPKT0_PS0_,comdat
.Lfunc_end14:
	.size	_Z18warp_reduce_kernelILb0EaLj61ELj100EEvPKT0_PS0_, .Lfunc_end14-_Z18warp_reduce_kernelILb0EaLj61ELj100EEvPKT0_PS0_
                                        ; -- End function
	.section	.AMDGPU.csdata,"",@progbits
; Kernel info:
; codeLenInByte = 528
; NumSgprs: 19
; NumVgprs: 5
; NumAgprs: 0
; TotalNumVgprs: 5
; ScratchSize: 0
; MemoryBound: 0
; FloatMode: 240
; IeeeMode: 1
; LDSByteSize: 61 bytes/workgroup (compile time only)
; SGPRBlocks: 2
; VGPRBlocks: 0
; NumSGPRsForWavesPerEU: 19
; NumVGPRsForWavesPerEU: 5
; AccumOffset: 8
; Occupancy: 8
; WaveLimiterHint : 0
; COMPUTE_PGM_RSRC2:SCRATCH_EN: 0
; COMPUTE_PGM_RSRC2:USER_SGPR: 6
; COMPUTE_PGM_RSRC2:TRAP_HANDLER: 0
; COMPUTE_PGM_RSRC2:TGID_X_EN: 1
; COMPUTE_PGM_RSRC2:TGID_Y_EN: 0
; COMPUTE_PGM_RSRC2:TGID_Z_EN: 0
; COMPUTE_PGM_RSRC2:TIDIG_COMP_CNT: 0
; COMPUTE_PGM_RSRC3_GFX90A:ACCUM_OFFSET: 1
; COMPUTE_PGM_RSRC3_GFX90A:TG_SPLIT: 0
	.section	.text._Z18warp_reduce_kernelILb0EaLj64ELj100EEvPKT0_PS0_,"axG",@progbits,_Z18warp_reduce_kernelILb0EaLj64ELj100EEvPKT0_PS0_,comdat
	.protected	_Z18warp_reduce_kernelILb0EaLj64ELj100EEvPKT0_PS0_ ; -- Begin function _Z18warp_reduce_kernelILb0EaLj64ELj100EEvPKT0_PS0_
	.globl	_Z18warp_reduce_kernelILb0EaLj64ELj100EEvPKT0_PS0_
	.p2align	8
	.type	_Z18warp_reduce_kernelILb0EaLj64ELj100EEvPKT0_PS0_,@function
_Z18warp_reduce_kernelILb0EaLj64ELj100EEvPKT0_PS0_: ; @_Z18warp_reduce_kernelILb0EaLj64ELj100EEvPKT0_PS0_
; %bb.0:
	s_load_dword s7, s[4:5], 0x1c
	s_load_dwordx4 s[0:3], s[4:5], 0x0
	v_mbcnt_lo_u32_b32 v1, -1, 0
	v_mbcnt_hi_u32_b32 v1, -1, v1
	v_bfrev_b32_e32 v3, 0.5
	s_waitcnt lgkmcnt(0)
	s_and_b32 s4, s7, 0xffff
	s_mul_i32 s6, s6, s4
	v_add_u32_e32 v0, s6, v0
	global_load_ubyte v2, v0, s[0:1]
	v_lshl_or_b32 v1, v1, 2, v3
	s_movk_i32 s0, 0x64
.LBB15_1:                               ; =>This Inner Loop Header: Depth=1
	s_waitcnt vmcnt(0) lgkmcnt(0)
	v_and_b32_e32 v3, 0xff, v2
	s_add_i32 s0, s0, -1
	s_cmp_eq_u32 s0, 0
	v_mov_b32_dpp v3, v3 quad_perm:[1,0,3,2] row_mask:0xf bank_mask:0xf
	v_add_u16_e32 v2, v2, v3
	v_and_b32_e32 v3, 0xff, v2
	s_nop 1
	v_mov_b32_dpp v3, v3 quad_perm:[2,3,0,1] row_mask:0xf bank_mask:0xf
	v_add_u16_e32 v2, v2, v3
	v_and_b32_e32 v3, 0xff, v2
	s_nop 1
	v_mov_b32_dpp v3, v3 row_ror:4 row_mask:0xf bank_mask:0xf
	v_add_u16_e32 v2, v2, v3
	v_and_b32_e32 v3, 0xff, v2
	s_nop 1
	v_mov_b32_dpp v3, v3 row_ror:8 row_mask:0xf bank_mask:0xf
	v_add_u16_e32 v2, v2, v3
	v_and_b32_e32 v3, 0xff, v2
	s_nop 1
	v_mov_b32_dpp v3, v3 row_bcast:15 row_mask:0xf bank_mask:0xf
	v_add_u16_e32 v2, v2, v3
	v_and_b32_e32 v3, 0xff, v2
	s_nop 1
	v_mov_b32_dpp v3, v3 row_bcast:31 row_mask:0xf bank_mask:0xf
	v_add_u16_e32 v2, v2, v3
	v_and_b32_e32 v2, 0xff, v2
	ds_bpermute_b32 v2, v1, v2
	s_cbranch_scc0 .LBB15_1
; %bb.2:
	v_mov_b32_e32 v1, s3
	v_add_co_u32_e32 v0, vcc, s2, v0
	v_addc_co_u32_e32 v1, vcc, 0, v1, vcc
	s_waitcnt lgkmcnt(0)
	global_store_byte v[0:1], v2, off
	s_endpgm
	.section	.rodata,"a",@progbits
	.p2align	6, 0x0
	.amdhsa_kernel _Z18warp_reduce_kernelILb0EaLj64ELj100EEvPKT0_PS0_
		.amdhsa_group_segment_fixed_size 0
		.amdhsa_private_segment_fixed_size 0
		.amdhsa_kernarg_size 272
		.amdhsa_user_sgpr_count 6
		.amdhsa_user_sgpr_private_segment_buffer 1
		.amdhsa_user_sgpr_dispatch_ptr 0
		.amdhsa_user_sgpr_queue_ptr 0
		.amdhsa_user_sgpr_kernarg_segment_ptr 1
		.amdhsa_user_sgpr_dispatch_id 0
		.amdhsa_user_sgpr_flat_scratch_init 0
		.amdhsa_user_sgpr_kernarg_preload_length 0
		.amdhsa_user_sgpr_kernarg_preload_offset 0
		.amdhsa_user_sgpr_private_segment_size 0
		.amdhsa_uses_dynamic_stack 0
		.amdhsa_system_sgpr_private_segment_wavefront_offset 0
		.amdhsa_system_sgpr_workgroup_id_x 1
		.amdhsa_system_sgpr_workgroup_id_y 0
		.amdhsa_system_sgpr_workgroup_id_z 0
		.amdhsa_system_sgpr_workgroup_info 0
		.amdhsa_system_vgpr_workitem_id 0
		.amdhsa_next_free_vgpr 4
		.amdhsa_next_free_sgpr 8
		.amdhsa_accum_offset 4
		.amdhsa_reserve_vcc 1
		.amdhsa_reserve_flat_scratch 0
		.amdhsa_float_round_mode_32 0
		.amdhsa_float_round_mode_16_64 0
		.amdhsa_float_denorm_mode_32 3
		.amdhsa_float_denorm_mode_16_64 3
		.amdhsa_dx10_clamp 1
		.amdhsa_ieee_mode 1
		.amdhsa_fp16_overflow 0
		.amdhsa_tg_split 0
		.amdhsa_exception_fp_ieee_invalid_op 0
		.amdhsa_exception_fp_denorm_src 0
		.amdhsa_exception_fp_ieee_div_zero 0
		.amdhsa_exception_fp_ieee_overflow 0
		.amdhsa_exception_fp_ieee_underflow 0
		.amdhsa_exception_fp_ieee_inexact 0
		.amdhsa_exception_int_div_zero 0
	.end_amdhsa_kernel
	.section	.text._Z18warp_reduce_kernelILb0EaLj64ELj100EEvPKT0_PS0_,"axG",@progbits,_Z18warp_reduce_kernelILb0EaLj64ELj100EEvPKT0_PS0_,comdat
.Lfunc_end15:
	.size	_Z18warp_reduce_kernelILb0EaLj64ELj100EEvPKT0_PS0_, .Lfunc_end15-_Z18warp_reduce_kernelILb0EaLj64ELj100EEvPKT0_PS0_
                                        ; -- End function
	.section	.AMDGPU.csdata,"",@progbits
; Kernel info:
; codeLenInByte = 276
; NumSgprs: 12
; NumVgprs: 4
; NumAgprs: 0
; TotalNumVgprs: 4
; ScratchSize: 0
; MemoryBound: 0
; FloatMode: 240
; IeeeMode: 1
; LDSByteSize: 0 bytes/workgroup (compile time only)
; SGPRBlocks: 1
; VGPRBlocks: 0
; NumSGPRsForWavesPerEU: 12
; NumVGPRsForWavesPerEU: 4
; AccumOffset: 4
; Occupancy: 8
; WaveLimiterHint : 0
; COMPUTE_PGM_RSRC2:SCRATCH_EN: 0
; COMPUTE_PGM_RSRC2:USER_SGPR: 6
; COMPUTE_PGM_RSRC2:TRAP_HANDLER: 0
; COMPUTE_PGM_RSRC2:TGID_X_EN: 1
; COMPUTE_PGM_RSRC2:TGID_Y_EN: 0
; COMPUTE_PGM_RSRC2:TGID_Z_EN: 0
; COMPUTE_PGM_RSRC2:TIDIG_COMP_CNT: 0
; COMPUTE_PGM_RSRC3_GFX90A:ACCUM_OFFSET: 0
; COMPUTE_PGM_RSRC3_GFX90A:TG_SPLIT: 0
	.section	.text._Z18warp_reduce_kernelILb0EhLj32ELj100EEvPKT0_PS0_,"axG",@progbits,_Z18warp_reduce_kernelILb0EhLj32ELj100EEvPKT0_PS0_,comdat
	.protected	_Z18warp_reduce_kernelILb0EhLj32ELj100EEvPKT0_PS0_ ; -- Begin function _Z18warp_reduce_kernelILb0EhLj32ELj100EEvPKT0_PS0_
	.globl	_Z18warp_reduce_kernelILb0EhLj32ELj100EEvPKT0_PS0_
	.p2align	8
	.type	_Z18warp_reduce_kernelILb0EhLj32ELj100EEvPKT0_PS0_,@function
_Z18warp_reduce_kernelILb0EhLj32ELj100EEvPKT0_PS0_: ; @_Z18warp_reduce_kernelILb0EhLj32ELj100EEvPKT0_PS0_
; %bb.0:
	s_load_dword s7, s[4:5], 0x1c
	s_load_dwordx4 s[0:3], s[4:5], 0x0
	v_mbcnt_lo_u32_b32 v1, -1, 0
	v_mbcnt_hi_u32_b32 v6, -1, v1
	v_and_b32_e32 v7, 31, v6
	s_waitcnt lgkmcnt(0)
	s_and_b32 s4, s7, 0xffff
	s_mul_i32 s6, s6, s4
	v_add_u32_e32 v0, s6, v0
	global_load_ubyte v2, v0, s[0:1]
	v_cmp_ne_u32_e32 vcc, 31, v7
	v_addc_co_u32_e32 v1, vcc, 0, v6, vcc
	v_cmp_gt_u32_e32 vcc, 30, v7
	v_cndmask_b32_e64 v3, 0, 1, vcc
	v_cmp_gt_u32_e32 vcc, 28, v7
	v_cndmask_b32_e64 v4, 0, 1, vcc
	;; [unrolled: 2-line block ×4, first 2 shown]
	v_lshlrev_b32_e32 v3, 1, v3
	v_lshlrev_b32_e32 v4, 2, v4
	;; [unrolled: 1-line block ×5, first 2 shown]
	v_add_lshl_u32 v3, v3, v6, 2
	v_add_lshl_u32 v4, v4, v6, 2
	;; [unrolled: 1-line block ×4, first 2 shown]
	s_movk_i32 s0, 0x64
.LBB16_1:                               ; =>This Inner Loop Header: Depth=1
	s_waitcnt vmcnt(0)
	v_and_b32_e32 v7, 0xff, v2
	ds_bpermute_b32 v7, v1, v7
	s_add_i32 s0, s0, -1
	s_cmp_eq_u32 s0, 0
	s_waitcnt lgkmcnt(0)
	v_add_u16_e32 v2, v2, v7
	v_and_b32_e32 v7, 0xff, v2
	ds_bpermute_b32 v7, v3, v7
	s_waitcnt lgkmcnt(0)
	v_add_u16_e32 v2, v2, v7
	v_and_b32_e32 v7, 0xff, v2
	ds_bpermute_b32 v7, v4, v7
	;; [unrolled: 4-line block ×4, first 2 shown]
	s_waitcnt lgkmcnt(0)
	v_add_u16_e32 v2, v2, v7
	s_cbranch_scc0 .LBB16_1
; %bb.2:
	v_mov_b32_e32 v1, s3
	v_add_co_u32_e32 v0, vcc, s2, v0
	v_addc_co_u32_e32 v1, vcc, 0, v1, vcc
	global_store_byte v[0:1], v2, off
	s_endpgm
	.section	.rodata,"a",@progbits
	.p2align	6, 0x0
	.amdhsa_kernel _Z18warp_reduce_kernelILb0EhLj32ELj100EEvPKT0_PS0_
		.amdhsa_group_segment_fixed_size 0
		.amdhsa_private_segment_fixed_size 0
		.amdhsa_kernarg_size 272
		.amdhsa_user_sgpr_count 6
		.amdhsa_user_sgpr_private_segment_buffer 1
		.amdhsa_user_sgpr_dispatch_ptr 0
		.amdhsa_user_sgpr_queue_ptr 0
		.amdhsa_user_sgpr_kernarg_segment_ptr 1
		.amdhsa_user_sgpr_dispatch_id 0
		.amdhsa_user_sgpr_flat_scratch_init 0
		.amdhsa_user_sgpr_kernarg_preload_length 0
		.amdhsa_user_sgpr_kernarg_preload_offset 0
		.amdhsa_user_sgpr_private_segment_size 0
		.amdhsa_uses_dynamic_stack 0
		.amdhsa_system_sgpr_private_segment_wavefront_offset 0
		.amdhsa_system_sgpr_workgroup_id_x 1
		.amdhsa_system_sgpr_workgroup_id_y 0
		.amdhsa_system_sgpr_workgroup_id_z 0
		.amdhsa_system_sgpr_workgroup_info 0
		.amdhsa_system_vgpr_workitem_id 0
		.amdhsa_next_free_vgpr 8
		.amdhsa_next_free_sgpr 8
		.amdhsa_accum_offset 8
		.amdhsa_reserve_vcc 1
		.amdhsa_reserve_flat_scratch 0
		.amdhsa_float_round_mode_32 0
		.amdhsa_float_round_mode_16_64 0
		.amdhsa_float_denorm_mode_32 3
		.amdhsa_float_denorm_mode_16_64 3
		.amdhsa_dx10_clamp 1
		.amdhsa_ieee_mode 1
		.amdhsa_fp16_overflow 0
		.amdhsa_tg_split 0
		.amdhsa_exception_fp_ieee_invalid_op 0
		.amdhsa_exception_fp_denorm_src 0
		.amdhsa_exception_fp_ieee_div_zero 0
		.amdhsa_exception_fp_ieee_overflow 0
		.amdhsa_exception_fp_ieee_underflow 0
		.amdhsa_exception_fp_ieee_inexact 0
		.amdhsa_exception_int_div_zero 0
	.end_amdhsa_kernel
	.section	.text._Z18warp_reduce_kernelILb0EhLj32ELj100EEvPKT0_PS0_,"axG",@progbits,_Z18warp_reduce_kernelILb0EhLj32ELj100EEvPKT0_PS0_,comdat
.Lfunc_end16:
	.size	_Z18warp_reduce_kernelILb0EhLj32ELj100EEvPKT0_PS0_, .Lfunc_end16-_Z18warp_reduce_kernelILb0EhLj32ELj100EEvPKT0_PS0_
                                        ; -- End function
	.section	.AMDGPU.csdata,"",@progbits
; Kernel info:
; codeLenInByte = 336
; NumSgprs: 12
; NumVgprs: 8
; NumAgprs: 0
; TotalNumVgprs: 8
; ScratchSize: 0
; MemoryBound: 0
; FloatMode: 240
; IeeeMode: 1
; LDSByteSize: 0 bytes/workgroup (compile time only)
; SGPRBlocks: 1
; VGPRBlocks: 0
; NumSGPRsForWavesPerEU: 12
; NumVGPRsForWavesPerEU: 8
; AccumOffset: 8
; Occupancy: 8
; WaveLimiterHint : 0
; COMPUTE_PGM_RSRC2:SCRATCH_EN: 0
; COMPUTE_PGM_RSRC2:USER_SGPR: 6
; COMPUTE_PGM_RSRC2:TRAP_HANDLER: 0
; COMPUTE_PGM_RSRC2:TGID_X_EN: 1
; COMPUTE_PGM_RSRC2:TGID_Y_EN: 0
; COMPUTE_PGM_RSRC2:TGID_Z_EN: 0
; COMPUTE_PGM_RSRC2:TIDIG_COMP_CNT: 0
; COMPUTE_PGM_RSRC3_GFX90A:ACCUM_OFFSET: 1
; COMPUTE_PGM_RSRC3_GFX90A:TG_SPLIT: 0
	.section	.text._Z18warp_reduce_kernelILb0EhLj37ELj100EEvPKT0_PS0_,"axG",@progbits,_Z18warp_reduce_kernelILb0EhLj37ELj100EEvPKT0_PS0_,comdat
	.protected	_Z18warp_reduce_kernelILb0EhLj37ELj100EEvPKT0_PS0_ ; -- Begin function _Z18warp_reduce_kernelILb0EhLj37ELj100EEvPKT0_PS0_
	.globl	_Z18warp_reduce_kernelILb0EhLj37ELj100EEvPKT0_PS0_
	.p2align	8
	.type	_Z18warp_reduce_kernelILb0EhLj37ELj100EEvPKT0_PS0_,@function
_Z18warp_reduce_kernelILb0EhLj37ELj100EEvPKT0_PS0_: ; @_Z18warp_reduce_kernelILb0EhLj37ELj100EEvPKT0_PS0_
; %bb.0:
	s_load_dword s0, s[4:5], 0x1c
	s_load_dwordx4 s[8:11], s[4:5], 0x0
	v_mbcnt_lo_u32_b32 v2, -1, 0
	v_mbcnt_hi_u32_b32 v2, -1, v2
	v_mov_b32_e32 v1, 0
	s_waitcnt lgkmcnt(0)
	s_and_b32 s0, s0, 0xffff
	s_mul_i32 s6, s6, s0
	v_add_u32_e32 v0, s6, v0
	global_load_ubyte v3, v0, s[8:9]
	s_mov_b32 s0, 0x6eb3e46
	v_mul_hi_u32 v4, v2, s0
	v_mul_u32_u24_e32 v4, 37, v4
	v_sub_u32_e32 v2, v2, v4
	v_cmp_gt_u32_e32 vcc, 5, v2
	v_cmp_gt_u32_e64 s[0:1], 16, v2
	v_cmp_gt_u32_e64 s[2:3], 8, v2
	;; [unrolled: 1-line block ×4, first 2 shown]
	v_cmp_eq_u32_e64 s[8:9], 0, v2
	s_movk_i32 s14, 0x64
	s_branch .LBB17_2
.LBB17_1:                               ;   in Loop: Header=BB17_2 Depth=1
	s_or_b64 exec, exec, s[12:13]
	s_add_i32 s14, s14, -1
	s_cmp_eq_u32 s14, 0
	; wave barrier
	s_cbranch_scc1 .LBB17_26
.LBB17_2:                               ; =>This Inner Loop Header: Depth=1
	s_waitcnt vmcnt(0)
	ds_write_b8 v2, v3
	; wave barrier
	s_and_saveexec_b64 s[12:13], vcc
	s_cbranch_execz .LBB17_4
; %bb.3:                                ;   in Loop: Header=BB17_2 Depth=1
	ds_read_u8 v3, v2
	ds_read_u8 v4, v2 offset:32
	s_waitcnt lgkmcnt(0)
	v_add_u16_e32 v3, v4, v3
.LBB17_4:                               ;   in Loop: Header=BB17_2 Depth=1
	s_or_b64 exec, exec, s[12:13]
	; wave barrier
	s_and_saveexec_b64 s[12:13], vcc
	s_cbranch_execz .LBB17_6
; %bb.5:                                ;   in Loop: Header=BB17_2 Depth=1
	ds_write_b8 v2, v3
.LBB17_6:                               ;   in Loop: Header=BB17_2 Depth=1
	s_or_b64 exec, exec, s[12:13]
	; wave barrier
	s_and_saveexec_b64 s[12:13], s[0:1]
	s_cbranch_execz .LBB17_8
; %bb.7:                                ;   in Loop: Header=BB17_2 Depth=1
	ds_read_u8 v3, v2
	ds_read_u8 v4, v2 offset:16
	s_waitcnt lgkmcnt(0)
	v_add_u16_e32 v3, v4, v3
.LBB17_8:                               ;   in Loop: Header=BB17_2 Depth=1
	s_or_b64 exec, exec, s[12:13]
	; wave barrier
	s_and_saveexec_b64 s[12:13], s[0:1]
	s_cbranch_execz .LBB17_10
; %bb.9:                                ;   in Loop: Header=BB17_2 Depth=1
	ds_write_b8 v2, v3
.LBB17_10:                              ;   in Loop: Header=BB17_2 Depth=1
	s_or_b64 exec, exec, s[12:13]
	; wave barrier
	s_and_saveexec_b64 s[12:13], s[2:3]
	s_cbranch_execz .LBB17_12
; %bb.11:                               ;   in Loop: Header=BB17_2 Depth=1
	ds_read_u8 v3, v2
	ds_read_u8 v4, v2 offset:8
	s_waitcnt lgkmcnt(0)
	v_add_u16_e32 v3, v4, v3
.LBB17_12:                              ;   in Loop: Header=BB17_2 Depth=1
	s_or_b64 exec, exec, s[12:13]
	; wave barrier
	s_and_saveexec_b64 s[12:13], s[2:3]
	s_cbranch_execz .LBB17_14
; %bb.13:                               ;   in Loop: Header=BB17_2 Depth=1
	ds_write_b8 v2, v3
.LBB17_14:                              ;   in Loop: Header=BB17_2 Depth=1
	s_or_b64 exec, exec, s[12:13]
	; wave barrier
	s_and_saveexec_b64 s[12:13], s[4:5]
	s_cbranch_execz .LBB17_16
; %bb.15:                               ;   in Loop: Header=BB17_2 Depth=1
	ds_read_u8 v3, v2
	ds_read_u8 v4, v2 offset:4
	s_waitcnt lgkmcnt(0)
	v_add_u16_e32 v3, v4, v3
.LBB17_16:                              ;   in Loop: Header=BB17_2 Depth=1
	s_or_b64 exec, exec, s[12:13]
	; wave barrier
	s_and_saveexec_b64 s[12:13], s[4:5]
	s_cbranch_execz .LBB17_18
; %bb.17:                               ;   in Loop: Header=BB17_2 Depth=1
	ds_write_b8 v2, v3
.LBB17_18:                              ;   in Loop: Header=BB17_2 Depth=1
	;; [unrolled: 17-line block ×3, first 2 shown]
	s_or_b64 exec, exec, s[12:13]
	; wave barrier
	s_and_saveexec_b64 s[12:13], s[8:9]
	s_cbranch_execz .LBB17_24
; %bb.23:                               ;   in Loop: Header=BB17_2 Depth=1
	ds_read_u8 v3, v2
	ds_read_u8 v4, v1 offset:1
	s_waitcnt lgkmcnt(0)
	v_add_u16_e32 v3, v4, v3
.LBB17_24:                              ;   in Loop: Header=BB17_2 Depth=1
	s_or_b64 exec, exec, s[12:13]
	; wave barrier
	s_and_saveexec_b64 s[12:13], s[8:9]
	s_cbranch_execz .LBB17_1
; %bb.25:                               ;   in Loop: Header=BB17_2 Depth=1
	ds_write_b8 v2, v3
	s_branch .LBB17_1
.LBB17_26:
	v_mov_b32_e32 v1, s11
	v_add_co_u32_e32 v0, vcc, s10, v0
	v_addc_co_u32_e32 v1, vcc, 0, v1, vcc
	global_store_byte v[0:1], v3, off
	s_endpgm
	.section	.rodata,"a",@progbits
	.p2align	6, 0x0
	.amdhsa_kernel _Z18warp_reduce_kernelILb0EhLj37ELj100EEvPKT0_PS0_
		.amdhsa_group_segment_fixed_size 37
		.amdhsa_private_segment_fixed_size 0
		.amdhsa_kernarg_size 272
		.amdhsa_user_sgpr_count 6
		.amdhsa_user_sgpr_private_segment_buffer 1
		.amdhsa_user_sgpr_dispatch_ptr 0
		.amdhsa_user_sgpr_queue_ptr 0
		.amdhsa_user_sgpr_kernarg_segment_ptr 1
		.amdhsa_user_sgpr_dispatch_id 0
		.amdhsa_user_sgpr_flat_scratch_init 0
		.amdhsa_user_sgpr_kernarg_preload_length 0
		.amdhsa_user_sgpr_kernarg_preload_offset 0
		.amdhsa_user_sgpr_private_segment_size 0
		.amdhsa_uses_dynamic_stack 0
		.amdhsa_system_sgpr_private_segment_wavefront_offset 0
		.amdhsa_system_sgpr_workgroup_id_x 1
		.amdhsa_system_sgpr_workgroup_id_y 0
		.amdhsa_system_sgpr_workgroup_id_z 0
		.amdhsa_system_sgpr_workgroup_info 0
		.amdhsa_system_vgpr_workitem_id 0
		.amdhsa_next_free_vgpr 5
		.amdhsa_next_free_sgpr 15
		.amdhsa_accum_offset 8
		.amdhsa_reserve_vcc 1
		.amdhsa_reserve_flat_scratch 0
		.amdhsa_float_round_mode_32 0
		.amdhsa_float_round_mode_16_64 0
		.amdhsa_float_denorm_mode_32 3
		.amdhsa_float_denorm_mode_16_64 3
		.amdhsa_dx10_clamp 1
		.amdhsa_ieee_mode 1
		.amdhsa_fp16_overflow 0
		.amdhsa_tg_split 0
		.amdhsa_exception_fp_ieee_invalid_op 0
		.amdhsa_exception_fp_denorm_src 0
		.amdhsa_exception_fp_ieee_div_zero 0
		.amdhsa_exception_fp_ieee_overflow 0
		.amdhsa_exception_fp_ieee_underflow 0
		.amdhsa_exception_fp_ieee_inexact 0
		.amdhsa_exception_int_div_zero 0
	.end_amdhsa_kernel
	.section	.text._Z18warp_reduce_kernelILb0EhLj37ELj100EEvPKT0_PS0_,"axG",@progbits,_Z18warp_reduce_kernelILb0EhLj37ELj100EEvPKT0_PS0_,comdat
.Lfunc_end17:
	.size	_Z18warp_reduce_kernelILb0EhLj37ELj100EEvPKT0_PS0_, .Lfunc_end17-_Z18warp_reduce_kernelILb0EhLj37ELj100EEvPKT0_PS0_
                                        ; -- End function
	.section	.AMDGPU.csdata,"",@progbits
; Kernel info:
; codeLenInByte = 528
; NumSgprs: 19
; NumVgprs: 5
; NumAgprs: 0
; TotalNumVgprs: 5
; ScratchSize: 0
; MemoryBound: 0
; FloatMode: 240
; IeeeMode: 1
; LDSByteSize: 37 bytes/workgroup (compile time only)
; SGPRBlocks: 2
; VGPRBlocks: 0
; NumSGPRsForWavesPerEU: 19
; NumVGPRsForWavesPerEU: 5
; AccumOffset: 8
; Occupancy: 8
; WaveLimiterHint : 0
; COMPUTE_PGM_RSRC2:SCRATCH_EN: 0
; COMPUTE_PGM_RSRC2:USER_SGPR: 6
; COMPUTE_PGM_RSRC2:TRAP_HANDLER: 0
; COMPUTE_PGM_RSRC2:TGID_X_EN: 1
; COMPUTE_PGM_RSRC2:TGID_Y_EN: 0
; COMPUTE_PGM_RSRC2:TGID_Z_EN: 0
; COMPUTE_PGM_RSRC2:TIDIG_COMP_CNT: 0
; COMPUTE_PGM_RSRC3_GFX90A:ACCUM_OFFSET: 1
; COMPUTE_PGM_RSRC3_GFX90A:TG_SPLIT: 0
	.section	.text._Z18warp_reduce_kernelILb0EhLj61ELj100EEvPKT0_PS0_,"axG",@progbits,_Z18warp_reduce_kernelILb0EhLj61ELj100EEvPKT0_PS0_,comdat
	.protected	_Z18warp_reduce_kernelILb0EhLj61ELj100EEvPKT0_PS0_ ; -- Begin function _Z18warp_reduce_kernelILb0EhLj61ELj100EEvPKT0_PS0_
	.globl	_Z18warp_reduce_kernelILb0EhLj61ELj100EEvPKT0_PS0_
	.p2align	8
	.type	_Z18warp_reduce_kernelILb0EhLj61ELj100EEvPKT0_PS0_,@function
_Z18warp_reduce_kernelILb0EhLj61ELj100EEvPKT0_PS0_: ; @_Z18warp_reduce_kernelILb0EhLj61ELj100EEvPKT0_PS0_
; %bb.0:
	s_load_dword s0, s[4:5], 0x1c
	s_load_dwordx4 s[8:11], s[4:5], 0x0
	v_mbcnt_lo_u32_b32 v2, -1, 0
	v_mbcnt_hi_u32_b32 v2, -1, v2
	v_mov_b32_e32 v1, 0
	s_waitcnt lgkmcnt(0)
	s_and_b32 s0, s0, 0xffff
	s_mul_i32 s6, s6, s0
	v_add_u32_e32 v0, s6, v0
	global_load_ubyte v3, v0, s[8:9]
	s_mov_b32 s0, 0x4325c54
	v_mul_hi_u32 v4, v2, s0
	v_mul_u32_u24_e32 v4, 61, v4
	v_sub_u32_e32 v2, v2, v4
	v_cmp_gt_u32_e32 vcc, 29, v2
	v_cmp_gt_u32_e64 s[0:1], 16, v2
	v_cmp_gt_u32_e64 s[2:3], 8, v2
	;; [unrolled: 1-line block ×4, first 2 shown]
	v_cmp_eq_u32_e64 s[8:9], 0, v2
	s_movk_i32 s14, 0x64
	s_branch .LBB18_2
.LBB18_1:                               ;   in Loop: Header=BB18_2 Depth=1
	s_or_b64 exec, exec, s[12:13]
	s_add_i32 s14, s14, -1
	s_cmp_eq_u32 s14, 0
	; wave barrier
	s_cbranch_scc1 .LBB18_26
.LBB18_2:                               ; =>This Inner Loop Header: Depth=1
	s_waitcnt vmcnt(0)
	ds_write_b8 v2, v3
	; wave barrier
	s_and_saveexec_b64 s[12:13], vcc
	s_cbranch_execz .LBB18_4
; %bb.3:                                ;   in Loop: Header=BB18_2 Depth=1
	ds_read_u8 v3, v2
	ds_read_u8 v4, v2 offset:32
	s_waitcnt lgkmcnt(0)
	v_add_u16_e32 v3, v4, v3
.LBB18_4:                               ;   in Loop: Header=BB18_2 Depth=1
	s_or_b64 exec, exec, s[12:13]
	; wave barrier
	s_and_saveexec_b64 s[12:13], vcc
	s_cbranch_execz .LBB18_6
; %bb.5:                                ;   in Loop: Header=BB18_2 Depth=1
	ds_write_b8 v2, v3
.LBB18_6:                               ;   in Loop: Header=BB18_2 Depth=1
	s_or_b64 exec, exec, s[12:13]
	; wave barrier
	s_and_saveexec_b64 s[12:13], s[0:1]
	s_cbranch_execz .LBB18_8
; %bb.7:                                ;   in Loop: Header=BB18_2 Depth=1
	ds_read_u8 v3, v2
	ds_read_u8 v4, v2 offset:16
	s_waitcnt lgkmcnt(0)
	v_add_u16_e32 v3, v4, v3
.LBB18_8:                               ;   in Loop: Header=BB18_2 Depth=1
	s_or_b64 exec, exec, s[12:13]
	; wave barrier
	s_and_saveexec_b64 s[12:13], s[0:1]
	s_cbranch_execz .LBB18_10
; %bb.9:                                ;   in Loop: Header=BB18_2 Depth=1
	ds_write_b8 v2, v3
.LBB18_10:                              ;   in Loop: Header=BB18_2 Depth=1
	s_or_b64 exec, exec, s[12:13]
	; wave barrier
	s_and_saveexec_b64 s[12:13], s[2:3]
	s_cbranch_execz .LBB18_12
; %bb.11:                               ;   in Loop: Header=BB18_2 Depth=1
	ds_read_u8 v3, v2
	ds_read_u8 v4, v2 offset:8
	s_waitcnt lgkmcnt(0)
	v_add_u16_e32 v3, v4, v3
.LBB18_12:                              ;   in Loop: Header=BB18_2 Depth=1
	s_or_b64 exec, exec, s[12:13]
	; wave barrier
	s_and_saveexec_b64 s[12:13], s[2:3]
	s_cbranch_execz .LBB18_14
; %bb.13:                               ;   in Loop: Header=BB18_2 Depth=1
	ds_write_b8 v2, v3
.LBB18_14:                              ;   in Loop: Header=BB18_2 Depth=1
	s_or_b64 exec, exec, s[12:13]
	; wave barrier
	s_and_saveexec_b64 s[12:13], s[4:5]
	s_cbranch_execz .LBB18_16
; %bb.15:                               ;   in Loop: Header=BB18_2 Depth=1
	ds_read_u8 v3, v2
	ds_read_u8 v4, v2 offset:4
	s_waitcnt lgkmcnt(0)
	v_add_u16_e32 v3, v4, v3
.LBB18_16:                              ;   in Loop: Header=BB18_2 Depth=1
	s_or_b64 exec, exec, s[12:13]
	; wave barrier
	s_and_saveexec_b64 s[12:13], s[4:5]
	s_cbranch_execz .LBB18_18
; %bb.17:                               ;   in Loop: Header=BB18_2 Depth=1
	ds_write_b8 v2, v3
.LBB18_18:                              ;   in Loop: Header=BB18_2 Depth=1
	;; [unrolled: 17-line block ×3, first 2 shown]
	s_or_b64 exec, exec, s[12:13]
	; wave barrier
	s_and_saveexec_b64 s[12:13], s[8:9]
	s_cbranch_execz .LBB18_24
; %bb.23:                               ;   in Loop: Header=BB18_2 Depth=1
	ds_read_u8 v3, v2
	ds_read_u8 v4, v1 offset:1
	s_waitcnt lgkmcnt(0)
	v_add_u16_e32 v3, v4, v3
.LBB18_24:                              ;   in Loop: Header=BB18_2 Depth=1
	s_or_b64 exec, exec, s[12:13]
	; wave barrier
	s_and_saveexec_b64 s[12:13], s[8:9]
	s_cbranch_execz .LBB18_1
; %bb.25:                               ;   in Loop: Header=BB18_2 Depth=1
	ds_write_b8 v2, v3
	s_branch .LBB18_1
.LBB18_26:
	v_mov_b32_e32 v1, s11
	v_add_co_u32_e32 v0, vcc, s10, v0
	v_addc_co_u32_e32 v1, vcc, 0, v1, vcc
	global_store_byte v[0:1], v3, off
	s_endpgm
	.section	.rodata,"a",@progbits
	.p2align	6, 0x0
	.amdhsa_kernel _Z18warp_reduce_kernelILb0EhLj61ELj100EEvPKT0_PS0_
		.amdhsa_group_segment_fixed_size 61
		.amdhsa_private_segment_fixed_size 0
		.amdhsa_kernarg_size 272
		.amdhsa_user_sgpr_count 6
		.amdhsa_user_sgpr_private_segment_buffer 1
		.amdhsa_user_sgpr_dispatch_ptr 0
		.amdhsa_user_sgpr_queue_ptr 0
		.amdhsa_user_sgpr_kernarg_segment_ptr 1
		.amdhsa_user_sgpr_dispatch_id 0
		.amdhsa_user_sgpr_flat_scratch_init 0
		.amdhsa_user_sgpr_kernarg_preload_length 0
		.amdhsa_user_sgpr_kernarg_preload_offset 0
		.amdhsa_user_sgpr_private_segment_size 0
		.amdhsa_uses_dynamic_stack 0
		.amdhsa_system_sgpr_private_segment_wavefront_offset 0
		.amdhsa_system_sgpr_workgroup_id_x 1
		.amdhsa_system_sgpr_workgroup_id_y 0
		.amdhsa_system_sgpr_workgroup_id_z 0
		.amdhsa_system_sgpr_workgroup_info 0
		.amdhsa_system_vgpr_workitem_id 0
		.amdhsa_next_free_vgpr 5
		.amdhsa_next_free_sgpr 15
		.amdhsa_accum_offset 8
		.amdhsa_reserve_vcc 1
		.amdhsa_reserve_flat_scratch 0
		.amdhsa_float_round_mode_32 0
		.amdhsa_float_round_mode_16_64 0
		.amdhsa_float_denorm_mode_32 3
		.amdhsa_float_denorm_mode_16_64 3
		.amdhsa_dx10_clamp 1
		.amdhsa_ieee_mode 1
		.amdhsa_fp16_overflow 0
		.amdhsa_tg_split 0
		.amdhsa_exception_fp_ieee_invalid_op 0
		.amdhsa_exception_fp_denorm_src 0
		.amdhsa_exception_fp_ieee_div_zero 0
		.amdhsa_exception_fp_ieee_overflow 0
		.amdhsa_exception_fp_ieee_underflow 0
		.amdhsa_exception_fp_ieee_inexact 0
		.amdhsa_exception_int_div_zero 0
	.end_amdhsa_kernel
	.section	.text._Z18warp_reduce_kernelILb0EhLj61ELj100EEvPKT0_PS0_,"axG",@progbits,_Z18warp_reduce_kernelILb0EhLj61ELj100EEvPKT0_PS0_,comdat
.Lfunc_end18:
	.size	_Z18warp_reduce_kernelILb0EhLj61ELj100EEvPKT0_PS0_, .Lfunc_end18-_Z18warp_reduce_kernelILb0EhLj61ELj100EEvPKT0_PS0_
                                        ; -- End function
	.section	.AMDGPU.csdata,"",@progbits
; Kernel info:
; codeLenInByte = 528
; NumSgprs: 19
; NumVgprs: 5
; NumAgprs: 0
; TotalNumVgprs: 5
; ScratchSize: 0
; MemoryBound: 0
; FloatMode: 240
; IeeeMode: 1
; LDSByteSize: 61 bytes/workgroup (compile time only)
; SGPRBlocks: 2
; VGPRBlocks: 0
; NumSGPRsForWavesPerEU: 19
; NumVGPRsForWavesPerEU: 5
; AccumOffset: 8
; Occupancy: 8
; WaveLimiterHint : 0
; COMPUTE_PGM_RSRC2:SCRATCH_EN: 0
; COMPUTE_PGM_RSRC2:USER_SGPR: 6
; COMPUTE_PGM_RSRC2:TRAP_HANDLER: 0
; COMPUTE_PGM_RSRC2:TGID_X_EN: 1
; COMPUTE_PGM_RSRC2:TGID_Y_EN: 0
; COMPUTE_PGM_RSRC2:TGID_Z_EN: 0
; COMPUTE_PGM_RSRC2:TIDIG_COMP_CNT: 0
; COMPUTE_PGM_RSRC3_GFX90A:ACCUM_OFFSET: 1
; COMPUTE_PGM_RSRC3_GFX90A:TG_SPLIT: 0
	.section	.text._Z18warp_reduce_kernelILb0EhLj64ELj100EEvPKT0_PS0_,"axG",@progbits,_Z18warp_reduce_kernelILb0EhLj64ELj100EEvPKT0_PS0_,comdat
	.protected	_Z18warp_reduce_kernelILb0EhLj64ELj100EEvPKT0_PS0_ ; -- Begin function _Z18warp_reduce_kernelILb0EhLj64ELj100EEvPKT0_PS0_
	.globl	_Z18warp_reduce_kernelILb0EhLj64ELj100EEvPKT0_PS0_
	.p2align	8
	.type	_Z18warp_reduce_kernelILb0EhLj64ELj100EEvPKT0_PS0_,@function
_Z18warp_reduce_kernelILb0EhLj64ELj100EEvPKT0_PS0_: ; @_Z18warp_reduce_kernelILb0EhLj64ELj100EEvPKT0_PS0_
; %bb.0:
	s_load_dword s7, s[4:5], 0x1c
	s_load_dwordx4 s[0:3], s[4:5], 0x0
	v_mbcnt_lo_u32_b32 v1, -1, 0
	v_mbcnt_hi_u32_b32 v1, -1, v1
	v_bfrev_b32_e32 v3, 0.5
	s_waitcnt lgkmcnt(0)
	s_and_b32 s4, s7, 0xffff
	s_mul_i32 s6, s6, s4
	v_add_u32_e32 v0, s6, v0
	global_load_ubyte v2, v0, s[0:1]
	v_lshl_or_b32 v1, v1, 2, v3
	s_movk_i32 s0, 0x64
.LBB19_1:                               ; =>This Inner Loop Header: Depth=1
	s_waitcnt vmcnt(0) lgkmcnt(0)
	v_and_b32_e32 v3, 0xff, v2
	s_add_i32 s0, s0, -1
	s_cmp_eq_u32 s0, 0
	v_mov_b32_dpp v3, v3 quad_perm:[1,0,3,2] row_mask:0xf bank_mask:0xf
	v_add_u16_e32 v2, v2, v3
	v_and_b32_e32 v3, 0xff, v2
	s_nop 1
	v_mov_b32_dpp v3, v3 quad_perm:[2,3,0,1] row_mask:0xf bank_mask:0xf
	v_add_u16_e32 v2, v2, v3
	v_and_b32_e32 v3, 0xff, v2
	s_nop 1
	v_mov_b32_dpp v3, v3 row_ror:4 row_mask:0xf bank_mask:0xf
	v_add_u16_e32 v2, v2, v3
	v_and_b32_e32 v3, 0xff, v2
	s_nop 1
	v_mov_b32_dpp v3, v3 row_ror:8 row_mask:0xf bank_mask:0xf
	v_add_u16_e32 v2, v2, v3
	v_and_b32_e32 v3, 0xff, v2
	s_nop 1
	v_mov_b32_dpp v3, v3 row_bcast:15 row_mask:0xf bank_mask:0xf
	v_add_u16_e32 v2, v2, v3
	v_and_b32_e32 v3, 0xff, v2
	s_nop 1
	v_mov_b32_dpp v3, v3 row_bcast:31 row_mask:0xf bank_mask:0xf
	v_add_u16_e32 v2, v2, v3
	v_and_b32_e32 v2, 0xff, v2
	ds_bpermute_b32 v2, v1, v2
	s_cbranch_scc0 .LBB19_1
; %bb.2:
	v_mov_b32_e32 v1, s3
	v_add_co_u32_e32 v0, vcc, s2, v0
	v_addc_co_u32_e32 v1, vcc, 0, v1, vcc
	s_waitcnt lgkmcnt(0)
	global_store_byte v[0:1], v2, off
	s_endpgm
	.section	.rodata,"a",@progbits
	.p2align	6, 0x0
	.amdhsa_kernel _Z18warp_reduce_kernelILb0EhLj64ELj100EEvPKT0_PS0_
		.amdhsa_group_segment_fixed_size 0
		.amdhsa_private_segment_fixed_size 0
		.amdhsa_kernarg_size 272
		.amdhsa_user_sgpr_count 6
		.amdhsa_user_sgpr_private_segment_buffer 1
		.amdhsa_user_sgpr_dispatch_ptr 0
		.amdhsa_user_sgpr_queue_ptr 0
		.amdhsa_user_sgpr_kernarg_segment_ptr 1
		.amdhsa_user_sgpr_dispatch_id 0
		.amdhsa_user_sgpr_flat_scratch_init 0
		.amdhsa_user_sgpr_kernarg_preload_length 0
		.amdhsa_user_sgpr_kernarg_preload_offset 0
		.amdhsa_user_sgpr_private_segment_size 0
		.amdhsa_uses_dynamic_stack 0
		.amdhsa_system_sgpr_private_segment_wavefront_offset 0
		.amdhsa_system_sgpr_workgroup_id_x 1
		.amdhsa_system_sgpr_workgroup_id_y 0
		.amdhsa_system_sgpr_workgroup_id_z 0
		.amdhsa_system_sgpr_workgroup_info 0
		.amdhsa_system_vgpr_workitem_id 0
		.amdhsa_next_free_vgpr 4
		.amdhsa_next_free_sgpr 8
		.amdhsa_accum_offset 4
		.amdhsa_reserve_vcc 1
		.amdhsa_reserve_flat_scratch 0
		.amdhsa_float_round_mode_32 0
		.amdhsa_float_round_mode_16_64 0
		.amdhsa_float_denorm_mode_32 3
		.amdhsa_float_denorm_mode_16_64 3
		.amdhsa_dx10_clamp 1
		.amdhsa_ieee_mode 1
		.amdhsa_fp16_overflow 0
		.amdhsa_tg_split 0
		.amdhsa_exception_fp_ieee_invalid_op 0
		.amdhsa_exception_fp_denorm_src 0
		.amdhsa_exception_fp_ieee_div_zero 0
		.amdhsa_exception_fp_ieee_overflow 0
		.amdhsa_exception_fp_ieee_underflow 0
		.amdhsa_exception_fp_ieee_inexact 0
		.amdhsa_exception_int_div_zero 0
	.end_amdhsa_kernel
	.section	.text._Z18warp_reduce_kernelILb0EhLj64ELj100EEvPKT0_PS0_,"axG",@progbits,_Z18warp_reduce_kernelILb0EhLj64ELj100EEvPKT0_PS0_,comdat
.Lfunc_end19:
	.size	_Z18warp_reduce_kernelILb0EhLj64ELj100EEvPKT0_PS0_, .Lfunc_end19-_Z18warp_reduce_kernelILb0EhLj64ELj100EEvPKT0_PS0_
                                        ; -- End function
	.section	.AMDGPU.csdata,"",@progbits
; Kernel info:
; codeLenInByte = 276
; NumSgprs: 12
; NumVgprs: 4
; NumAgprs: 0
; TotalNumVgprs: 4
; ScratchSize: 0
; MemoryBound: 0
; FloatMode: 240
; IeeeMode: 1
; LDSByteSize: 0 bytes/workgroup (compile time only)
; SGPRBlocks: 1
; VGPRBlocks: 0
; NumSGPRsForWavesPerEU: 12
; NumVGPRsForWavesPerEU: 4
; AccumOffset: 4
; Occupancy: 8
; WaveLimiterHint : 0
; COMPUTE_PGM_RSRC2:SCRATCH_EN: 0
; COMPUTE_PGM_RSRC2:USER_SGPR: 6
; COMPUTE_PGM_RSRC2:TRAP_HANDLER: 0
; COMPUTE_PGM_RSRC2:TGID_X_EN: 1
; COMPUTE_PGM_RSRC2:TGID_Y_EN: 0
; COMPUTE_PGM_RSRC2:TGID_Z_EN: 0
; COMPUTE_PGM_RSRC2:TIDIG_COMP_CNT: 0
; COMPUTE_PGM_RSRC3_GFX90A:ACCUM_OFFSET: 0
; COMPUTE_PGM_RSRC3_GFX90A:TG_SPLIT: 0
	.section	.text._Z18warp_reduce_kernelILb0E6__halfLj32ELj100EEvPKT0_PS1_,"axG",@progbits,_Z18warp_reduce_kernelILb0E6__halfLj32ELj100EEvPKT0_PS1_,comdat
	.protected	_Z18warp_reduce_kernelILb0E6__halfLj32ELj100EEvPKT0_PS1_ ; -- Begin function _Z18warp_reduce_kernelILb0E6__halfLj32ELj100EEvPKT0_PS1_
	.globl	_Z18warp_reduce_kernelILb0E6__halfLj32ELj100EEvPKT0_PS1_
	.p2align	8
	.type	_Z18warp_reduce_kernelILb0E6__halfLj32ELj100EEvPKT0_PS1_,@function
_Z18warp_reduce_kernelILb0E6__halfLj32ELj100EEvPKT0_PS1_: ; @_Z18warp_reduce_kernelILb0E6__halfLj32ELj100EEvPKT0_PS1_
; %bb.0:
	s_load_dword s7, s[4:5], 0x1c
	s_load_dwordx4 s[0:3], s[4:5], 0x0
	v_mov_b32_e32 v1, 0
	s_waitcnt lgkmcnt(0)
	s_and_b32 s4, s7, 0xffff
	s_mul_i32 s6, s6, s4
	v_add_u32_e32 v0, s6, v0
	v_lshlrev_b64 v[0:1], 1, v[0:1]
	v_mov_b32_e32 v3, s1
	v_add_co_u32_e32 v2, vcc, s0, v0
	v_addc_co_u32_e32 v3, vcc, v3, v1, vcc
	global_load_ushort v2, v[2:3], off
	v_mbcnt_lo_u32_b32 v3, -1, 0
	v_mbcnt_hi_u32_b32 v7, -1, v3
	v_and_b32_e32 v8, 31, v7
	v_cmp_ne_u32_e32 vcc, 31, v8
	v_addc_co_u32_e32 v3, vcc, 0, v7, vcc
	v_cmp_gt_u32_e32 vcc, 30, v8
	v_cndmask_b32_e64 v4, 0, 1, vcc
	v_cmp_gt_u32_e32 vcc, 28, v8
	v_cndmask_b32_e64 v5, 0, 1, vcc
	;; [unrolled: 2-line block ×4, first 2 shown]
	v_lshlrev_b32_e32 v4, 1, v4
	v_lshlrev_b32_e32 v5, 2, v5
	;; [unrolled: 1-line block ×5, first 2 shown]
	v_add_lshl_u32 v4, v4, v7, 2
	v_add_lshl_u32 v5, v5, v7, 2
	;; [unrolled: 1-line block ×4, first 2 shown]
	s_movk_i32 s0, 0x64
.LBB20_1:                               ; =>This Inner Loop Header: Depth=1
	s_waitcnt vmcnt(0)
	v_and_b32_e32 v8, 0xffff, v2
	ds_bpermute_b32 v8, v3, v8
	s_add_i32 s0, s0, -1
	s_cmp_eq_u32 s0, 0
	s_waitcnt lgkmcnt(0)
	v_add_f16_e32 v2, v2, v8
	ds_bpermute_b32 v8, v4, v2
	s_waitcnt lgkmcnt(0)
	v_add_f16_e32 v2, v2, v8
	ds_bpermute_b32 v8, v5, v2
	;; [unrolled: 3-line block ×4, first 2 shown]
	s_waitcnt lgkmcnt(0)
	v_add_f16_e32 v2, v2, v8
	s_cbranch_scc0 .LBB20_1
; %bb.2:
	v_mov_b32_e32 v3, s3
	v_add_co_u32_e32 v0, vcc, s2, v0
	v_addc_co_u32_e32 v1, vcc, v3, v1, vcc
	global_store_short v[0:1], v2, off
	s_endpgm
	.section	.rodata,"a",@progbits
	.p2align	6, 0x0
	.amdhsa_kernel _Z18warp_reduce_kernelILb0E6__halfLj32ELj100EEvPKT0_PS1_
		.amdhsa_group_segment_fixed_size 0
		.amdhsa_private_segment_fixed_size 0
		.amdhsa_kernarg_size 272
		.amdhsa_user_sgpr_count 6
		.amdhsa_user_sgpr_private_segment_buffer 1
		.amdhsa_user_sgpr_dispatch_ptr 0
		.amdhsa_user_sgpr_queue_ptr 0
		.amdhsa_user_sgpr_kernarg_segment_ptr 1
		.amdhsa_user_sgpr_dispatch_id 0
		.amdhsa_user_sgpr_flat_scratch_init 0
		.amdhsa_user_sgpr_kernarg_preload_length 0
		.amdhsa_user_sgpr_kernarg_preload_offset 0
		.amdhsa_user_sgpr_private_segment_size 0
		.amdhsa_uses_dynamic_stack 0
		.amdhsa_system_sgpr_private_segment_wavefront_offset 0
		.amdhsa_system_sgpr_workgroup_id_x 1
		.amdhsa_system_sgpr_workgroup_id_y 0
		.amdhsa_system_sgpr_workgroup_id_z 0
		.amdhsa_system_sgpr_workgroup_info 0
		.amdhsa_system_vgpr_workitem_id 0
		.amdhsa_next_free_vgpr 9
		.amdhsa_next_free_sgpr 8
		.amdhsa_accum_offset 12
		.amdhsa_reserve_vcc 1
		.amdhsa_reserve_flat_scratch 0
		.amdhsa_float_round_mode_32 0
		.amdhsa_float_round_mode_16_64 0
		.amdhsa_float_denorm_mode_32 3
		.amdhsa_float_denorm_mode_16_64 3
		.amdhsa_dx10_clamp 1
		.amdhsa_ieee_mode 1
		.amdhsa_fp16_overflow 0
		.amdhsa_tg_split 0
		.amdhsa_exception_fp_ieee_invalid_op 0
		.amdhsa_exception_fp_denorm_src 0
		.amdhsa_exception_fp_ieee_div_zero 0
		.amdhsa_exception_fp_ieee_overflow 0
		.amdhsa_exception_fp_ieee_underflow 0
		.amdhsa_exception_fp_ieee_inexact 0
		.amdhsa_exception_int_div_zero 0
	.end_amdhsa_kernel
	.section	.text._Z18warp_reduce_kernelILb0E6__halfLj32ELj100EEvPKT0_PS1_,"axG",@progbits,_Z18warp_reduce_kernelILb0E6__halfLj32ELj100EEvPKT0_PS1_,comdat
.Lfunc_end20:
	.size	_Z18warp_reduce_kernelILb0E6__halfLj32ELj100EEvPKT0_PS1_, .Lfunc_end20-_Z18warp_reduce_kernelILb0E6__halfLj32ELj100EEvPKT0_PS1_
                                        ; -- End function
	.section	.AMDGPU.csdata,"",@progbits
; Kernel info:
; codeLenInByte = 328
; NumSgprs: 12
; NumVgprs: 9
; NumAgprs: 0
; TotalNumVgprs: 9
; ScratchSize: 0
; MemoryBound: 0
; FloatMode: 240
; IeeeMode: 1
; LDSByteSize: 0 bytes/workgroup (compile time only)
; SGPRBlocks: 1
; VGPRBlocks: 1
; NumSGPRsForWavesPerEU: 12
; NumVGPRsForWavesPerEU: 9
; AccumOffset: 12
; Occupancy: 8
; WaveLimiterHint : 0
; COMPUTE_PGM_RSRC2:SCRATCH_EN: 0
; COMPUTE_PGM_RSRC2:USER_SGPR: 6
; COMPUTE_PGM_RSRC2:TRAP_HANDLER: 0
; COMPUTE_PGM_RSRC2:TGID_X_EN: 1
; COMPUTE_PGM_RSRC2:TGID_Y_EN: 0
; COMPUTE_PGM_RSRC2:TGID_Z_EN: 0
; COMPUTE_PGM_RSRC2:TIDIG_COMP_CNT: 0
; COMPUTE_PGM_RSRC3_GFX90A:ACCUM_OFFSET: 2
; COMPUTE_PGM_RSRC3_GFX90A:TG_SPLIT: 0
	.section	.text._Z18warp_reduce_kernelILb0E6__halfLj37ELj100EEvPKT0_PS1_,"axG",@progbits,_Z18warp_reduce_kernelILb0E6__halfLj37ELj100EEvPKT0_PS1_,comdat
	.protected	_Z18warp_reduce_kernelILb0E6__halfLj37ELj100EEvPKT0_PS1_ ; -- Begin function _Z18warp_reduce_kernelILb0E6__halfLj37ELj100EEvPKT0_PS1_
	.globl	_Z18warp_reduce_kernelILb0E6__halfLj37ELj100EEvPKT0_PS1_
	.p2align	8
	.type	_Z18warp_reduce_kernelILb0E6__halfLj37ELj100EEvPKT0_PS1_,@function
_Z18warp_reduce_kernelILb0E6__halfLj37ELj100EEvPKT0_PS1_: ; @_Z18warp_reduce_kernelILb0E6__halfLj37ELj100EEvPKT0_PS1_
; %bb.0:
	s_load_dword s0, s[4:5], 0x1c
	s_load_dwordx4 s[8:11], s[4:5], 0x0
	v_mov_b32_e32 v1, 0
	s_movk_i32 s14, 0x64
	s_waitcnt lgkmcnt(0)
	s_and_b32 s0, s0, 0xffff
	s_mul_i32 s6, s6, s0
	v_add_u32_e32 v0, s6, v0
	v_lshlrev_b64 v[2:3], 1, v[0:1]
	v_mov_b32_e32 v0, s9
	v_add_co_u32_e32 v4, vcc, s8, v2
	v_addc_co_u32_e32 v5, vcc, v0, v3, vcc
	global_load_ushort v4, v[4:5], off
	v_mbcnt_lo_u32_b32 v0, -1, 0
	v_mbcnt_hi_u32_b32 v0, -1, v0
	s_mov_b32 s0, 0x6eb3e46
	v_mul_hi_u32 v5, v0, s0
	v_mul_u32_u24_e32 v5, 37, v5
	v_sub_u32_e32 v5, v0, v5
	v_lshlrev_b32_e32 v0, 1, v5
	v_cmp_gt_u32_e32 vcc, 5, v5
	v_cmp_gt_u32_e64 s[0:1], 16, v5
	v_cmp_gt_u32_e64 s[2:3], 8, v5
	;; [unrolled: 1-line block ×4, first 2 shown]
	v_cmp_eq_u32_e64 s[8:9], 0, v5
	s_branch .LBB21_2
.LBB21_1:                               ;   in Loop: Header=BB21_2 Depth=1
	s_or_b64 exec, exec, s[12:13]
	s_add_i32 s14, s14, -1
	s_cmp_eq_u32 s14, 0
	; wave barrier
	s_cbranch_scc1 .LBB21_26
.LBB21_2:                               ; =>This Inner Loop Header: Depth=1
	s_waitcnt vmcnt(0)
	ds_write_b16 v0, v4
	; wave barrier
	s_and_saveexec_b64 s[12:13], vcc
	s_cbranch_execz .LBB21_4
; %bb.3:                                ;   in Loop: Header=BB21_2 Depth=1
	ds_read_u16 v4, v0
	ds_read_u16 v5, v0 offset:64
	s_waitcnt lgkmcnt(0)
	v_add_f16_e32 v4, v4, v5
.LBB21_4:                               ;   in Loop: Header=BB21_2 Depth=1
	s_or_b64 exec, exec, s[12:13]
	; wave barrier
	s_and_saveexec_b64 s[12:13], vcc
	s_cbranch_execz .LBB21_6
; %bb.5:                                ;   in Loop: Header=BB21_2 Depth=1
	ds_write_b16 v0, v4
.LBB21_6:                               ;   in Loop: Header=BB21_2 Depth=1
	s_or_b64 exec, exec, s[12:13]
	; wave barrier
	s_and_saveexec_b64 s[12:13], s[0:1]
	s_cbranch_execz .LBB21_8
; %bb.7:                                ;   in Loop: Header=BB21_2 Depth=1
	ds_read_u16 v4, v0
	ds_read_u16 v5, v0 offset:32
	s_waitcnt lgkmcnt(0)
	v_add_f16_e32 v4, v4, v5
.LBB21_8:                               ;   in Loop: Header=BB21_2 Depth=1
	s_or_b64 exec, exec, s[12:13]
	; wave barrier
	s_and_saveexec_b64 s[12:13], s[0:1]
	s_cbranch_execz .LBB21_10
; %bb.9:                                ;   in Loop: Header=BB21_2 Depth=1
	ds_write_b16 v0, v4
.LBB21_10:                              ;   in Loop: Header=BB21_2 Depth=1
	s_or_b64 exec, exec, s[12:13]
	; wave barrier
	s_and_saveexec_b64 s[12:13], s[2:3]
	s_cbranch_execz .LBB21_12
; %bb.11:                               ;   in Loop: Header=BB21_2 Depth=1
	ds_read_u16 v4, v0
	ds_read_u16 v5, v0 offset:16
	s_waitcnt lgkmcnt(0)
	v_add_f16_e32 v4, v4, v5
.LBB21_12:                              ;   in Loop: Header=BB21_2 Depth=1
	s_or_b64 exec, exec, s[12:13]
	; wave barrier
	s_and_saveexec_b64 s[12:13], s[2:3]
	s_cbranch_execz .LBB21_14
; %bb.13:                               ;   in Loop: Header=BB21_2 Depth=1
	ds_write_b16 v0, v4
.LBB21_14:                              ;   in Loop: Header=BB21_2 Depth=1
	s_or_b64 exec, exec, s[12:13]
	; wave barrier
	s_and_saveexec_b64 s[12:13], s[4:5]
	s_cbranch_execz .LBB21_16
; %bb.15:                               ;   in Loop: Header=BB21_2 Depth=1
	ds_read_u16 v4, v0
	ds_read_u16 v5, v0 offset:8
	s_waitcnt lgkmcnt(0)
	v_add_f16_e32 v4, v4, v5
.LBB21_16:                              ;   in Loop: Header=BB21_2 Depth=1
	s_or_b64 exec, exec, s[12:13]
	; wave barrier
	s_and_saveexec_b64 s[12:13], s[4:5]
	s_cbranch_execz .LBB21_18
; %bb.17:                               ;   in Loop: Header=BB21_2 Depth=1
	ds_write_b16 v0, v4
.LBB21_18:                              ;   in Loop: Header=BB21_2 Depth=1
	;; [unrolled: 17-line block ×3, first 2 shown]
	s_or_b64 exec, exec, s[12:13]
	; wave barrier
	s_and_saveexec_b64 s[12:13], s[8:9]
	s_cbranch_execz .LBB21_24
; %bb.23:                               ;   in Loop: Header=BB21_2 Depth=1
	ds_read_u16 v4, v0
	ds_read_u16 v5, v1 offset:2
	s_waitcnt lgkmcnt(0)
	v_add_f16_e32 v4, v4, v5
.LBB21_24:                              ;   in Loop: Header=BB21_2 Depth=1
	s_or_b64 exec, exec, s[12:13]
	; wave barrier
	s_and_saveexec_b64 s[12:13], s[8:9]
	s_cbranch_execz .LBB21_1
; %bb.25:                               ;   in Loop: Header=BB21_2 Depth=1
	ds_write_b16 v0, v4
	s_branch .LBB21_1
.LBB21_26:
	v_mov_b32_e32 v1, s11
	v_add_co_u32_e32 v0, vcc, s10, v2
	v_addc_co_u32_e32 v1, vcc, v1, v3, vcc
	global_store_short v[0:1], v4, off
	s_endpgm
	.section	.rodata,"a",@progbits
	.p2align	6, 0x0
	.amdhsa_kernel _Z18warp_reduce_kernelILb0E6__halfLj37ELj100EEvPKT0_PS1_
		.amdhsa_group_segment_fixed_size 74
		.amdhsa_private_segment_fixed_size 0
		.amdhsa_kernarg_size 272
		.amdhsa_user_sgpr_count 6
		.amdhsa_user_sgpr_private_segment_buffer 1
		.amdhsa_user_sgpr_dispatch_ptr 0
		.amdhsa_user_sgpr_queue_ptr 0
		.amdhsa_user_sgpr_kernarg_segment_ptr 1
		.amdhsa_user_sgpr_dispatch_id 0
		.amdhsa_user_sgpr_flat_scratch_init 0
		.amdhsa_user_sgpr_kernarg_preload_length 0
		.amdhsa_user_sgpr_kernarg_preload_offset 0
		.amdhsa_user_sgpr_private_segment_size 0
		.amdhsa_uses_dynamic_stack 0
		.amdhsa_system_sgpr_private_segment_wavefront_offset 0
		.amdhsa_system_sgpr_workgroup_id_x 1
		.amdhsa_system_sgpr_workgroup_id_y 0
		.amdhsa_system_sgpr_workgroup_id_z 0
		.amdhsa_system_sgpr_workgroup_info 0
		.amdhsa_system_vgpr_workitem_id 0
		.amdhsa_next_free_vgpr 6
		.amdhsa_next_free_sgpr 15
		.amdhsa_accum_offset 8
		.amdhsa_reserve_vcc 1
		.amdhsa_reserve_flat_scratch 0
		.amdhsa_float_round_mode_32 0
		.amdhsa_float_round_mode_16_64 0
		.amdhsa_float_denorm_mode_32 3
		.amdhsa_float_denorm_mode_16_64 3
		.amdhsa_dx10_clamp 1
		.amdhsa_ieee_mode 1
		.amdhsa_fp16_overflow 0
		.amdhsa_tg_split 0
		.amdhsa_exception_fp_ieee_invalid_op 0
		.amdhsa_exception_fp_denorm_src 0
		.amdhsa_exception_fp_ieee_div_zero 0
		.amdhsa_exception_fp_ieee_overflow 0
		.amdhsa_exception_fp_ieee_underflow 0
		.amdhsa_exception_fp_ieee_inexact 0
		.amdhsa_exception_int_div_zero 0
	.end_amdhsa_kernel
	.section	.text._Z18warp_reduce_kernelILb0E6__halfLj37ELj100EEvPKT0_PS1_,"axG",@progbits,_Z18warp_reduce_kernelILb0E6__halfLj37ELj100EEvPKT0_PS1_,comdat
.Lfunc_end21:
	.size	_Z18warp_reduce_kernelILb0E6__halfLj37ELj100EEvPKT0_PS1_, .Lfunc_end21-_Z18warp_reduce_kernelILb0E6__halfLj37ELj100EEvPKT0_PS1_
                                        ; -- End function
	.section	.AMDGPU.csdata,"",@progbits
; Kernel info:
; codeLenInByte = 552
; NumSgprs: 19
; NumVgprs: 6
; NumAgprs: 0
; TotalNumVgprs: 6
; ScratchSize: 0
; MemoryBound: 0
; FloatMode: 240
; IeeeMode: 1
; LDSByteSize: 74 bytes/workgroup (compile time only)
; SGPRBlocks: 2
; VGPRBlocks: 0
; NumSGPRsForWavesPerEU: 19
; NumVGPRsForWavesPerEU: 6
; AccumOffset: 8
; Occupancy: 8
; WaveLimiterHint : 0
; COMPUTE_PGM_RSRC2:SCRATCH_EN: 0
; COMPUTE_PGM_RSRC2:USER_SGPR: 6
; COMPUTE_PGM_RSRC2:TRAP_HANDLER: 0
; COMPUTE_PGM_RSRC2:TGID_X_EN: 1
; COMPUTE_PGM_RSRC2:TGID_Y_EN: 0
; COMPUTE_PGM_RSRC2:TGID_Z_EN: 0
; COMPUTE_PGM_RSRC2:TIDIG_COMP_CNT: 0
; COMPUTE_PGM_RSRC3_GFX90A:ACCUM_OFFSET: 1
; COMPUTE_PGM_RSRC3_GFX90A:TG_SPLIT: 0
	.section	.text._Z18warp_reduce_kernelILb0E6__halfLj61ELj100EEvPKT0_PS1_,"axG",@progbits,_Z18warp_reduce_kernelILb0E6__halfLj61ELj100EEvPKT0_PS1_,comdat
	.protected	_Z18warp_reduce_kernelILb0E6__halfLj61ELj100EEvPKT0_PS1_ ; -- Begin function _Z18warp_reduce_kernelILb0E6__halfLj61ELj100EEvPKT0_PS1_
	.globl	_Z18warp_reduce_kernelILb0E6__halfLj61ELj100EEvPKT0_PS1_
	.p2align	8
	.type	_Z18warp_reduce_kernelILb0E6__halfLj61ELj100EEvPKT0_PS1_,@function
_Z18warp_reduce_kernelILb0E6__halfLj61ELj100EEvPKT0_PS1_: ; @_Z18warp_reduce_kernelILb0E6__halfLj61ELj100EEvPKT0_PS1_
; %bb.0:
	s_load_dword s0, s[4:5], 0x1c
	s_load_dwordx4 s[8:11], s[4:5], 0x0
	v_mov_b32_e32 v1, 0
	s_movk_i32 s14, 0x64
	s_waitcnt lgkmcnt(0)
	s_and_b32 s0, s0, 0xffff
	s_mul_i32 s6, s6, s0
	v_add_u32_e32 v0, s6, v0
	v_lshlrev_b64 v[2:3], 1, v[0:1]
	v_mov_b32_e32 v0, s9
	v_add_co_u32_e32 v4, vcc, s8, v2
	v_addc_co_u32_e32 v5, vcc, v0, v3, vcc
	global_load_ushort v4, v[4:5], off
	v_mbcnt_lo_u32_b32 v0, -1, 0
	v_mbcnt_hi_u32_b32 v0, -1, v0
	s_mov_b32 s0, 0x4325c54
	v_mul_hi_u32 v5, v0, s0
	v_mul_u32_u24_e32 v5, 61, v5
	v_sub_u32_e32 v5, v0, v5
	v_lshlrev_b32_e32 v0, 1, v5
	v_cmp_gt_u32_e32 vcc, 29, v5
	v_cmp_gt_u32_e64 s[0:1], 16, v5
	v_cmp_gt_u32_e64 s[2:3], 8, v5
	v_cmp_gt_u32_e64 s[4:5], 4, v5
	v_cmp_gt_u32_e64 s[6:7], 2, v5
	v_cmp_eq_u32_e64 s[8:9], 0, v5
	s_branch .LBB22_2
.LBB22_1:                               ;   in Loop: Header=BB22_2 Depth=1
	s_or_b64 exec, exec, s[12:13]
	s_add_i32 s14, s14, -1
	s_cmp_eq_u32 s14, 0
	; wave barrier
	s_cbranch_scc1 .LBB22_26
.LBB22_2:                               ; =>This Inner Loop Header: Depth=1
	s_waitcnt vmcnt(0)
	ds_write_b16 v0, v4
	; wave barrier
	s_and_saveexec_b64 s[12:13], vcc
	s_cbranch_execz .LBB22_4
; %bb.3:                                ;   in Loop: Header=BB22_2 Depth=1
	ds_read_u16 v4, v0
	ds_read_u16 v5, v0 offset:64
	s_waitcnt lgkmcnt(0)
	v_add_f16_e32 v4, v4, v5
.LBB22_4:                               ;   in Loop: Header=BB22_2 Depth=1
	s_or_b64 exec, exec, s[12:13]
	; wave barrier
	s_and_saveexec_b64 s[12:13], vcc
	s_cbranch_execz .LBB22_6
; %bb.5:                                ;   in Loop: Header=BB22_2 Depth=1
	ds_write_b16 v0, v4
.LBB22_6:                               ;   in Loop: Header=BB22_2 Depth=1
	s_or_b64 exec, exec, s[12:13]
	; wave barrier
	s_and_saveexec_b64 s[12:13], s[0:1]
	s_cbranch_execz .LBB22_8
; %bb.7:                                ;   in Loop: Header=BB22_2 Depth=1
	ds_read_u16 v4, v0
	ds_read_u16 v5, v0 offset:32
	s_waitcnt lgkmcnt(0)
	v_add_f16_e32 v4, v4, v5
.LBB22_8:                               ;   in Loop: Header=BB22_2 Depth=1
	s_or_b64 exec, exec, s[12:13]
	; wave barrier
	s_and_saveexec_b64 s[12:13], s[0:1]
	s_cbranch_execz .LBB22_10
; %bb.9:                                ;   in Loop: Header=BB22_2 Depth=1
	ds_write_b16 v0, v4
.LBB22_10:                              ;   in Loop: Header=BB22_2 Depth=1
	s_or_b64 exec, exec, s[12:13]
	; wave barrier
	s_and_saveexec_b64 s[12:13], s[2:3]
	s_cbranch_execz .LBB22_12
; %bb.11:                               ;   in Loop: Header=BB22_2 Depth=1
	ds_read_u16 v4, v0
	ds_read_u16 v5, v0 offset:16
	s_waitcnt lgkmcnt(0)
	v_add_f16_e32 v4, v4, v5
.LBB22_12:                              ;   in Loop: Header=BB22_2 Depth=1
	s_or_b64 exec, exec, s[12:13]
	; wave barrier
	s_and_saveexec_b64 s[12:13], s[2:3]
	s_cbranch_execz .LBB22_14
; %bb.13:                               ;   in Loop: Header=BB22_2 Depth=1
	ds_write_b16 v0, v4
.LBB22_14:                              ;   in Loop: Header=BB22_2 Depth=1
	s_or_b64 exec, exec, s[12:13]
	; wave barrier
	s_and_saveexec_b64 s[12:13], s[4:5]
	s_cbranch_execz .LBB22_16
; %bb.15:                               ;   in Loop: Header=BB22_2 Depth=1
	ds_read_u16 v4, v0
	ds_read_u16 v5, v0 offset:8
	s_waitcnt lgkmcnt(0)
	v_add_f16_e32 v4, v4, v5
.LBB22_16:                              ;   in Loop: Header=BB22_2 Depth=1
	s_or_b64 exec, exec, s[12:13]
	; wave barrier
	s_and_saveexec_b64 s[12:13], s[4:5]
	s_cbranch_execz .LBB22_18
; %bb.17:                               ;   in Loop: Header=BB22_2 Depth=1
	ds_write_b16 v0, v4
.LBB22_18:                              ;   in Loop: Header=BB22_2 Depth=1
	;; [unrolled: 17-line block ×3, first 2 shown]
	s_or_b64 exec, exec, s[12:13]
	; wave barrier
	s_and_saveexec_b64 s[12:13], s[8:9]
	s_cbranch_execz .LBB22_24
; %bb.23:                               ;   in Loop: Header=BB22_2 Depth=1
	ds_read_u16 v4, v0
	ds_read_u16 v5, v1 offset:2
	s_waitcnt lgkmcnt(0)
	v_add_f16_e32 v4, v4, v5
.LBB22_24:                              ;   in Loop: Header=BB22_2 Depth=1
	s_or_b64 exec, exec, s[12:13]
	; wave barrier
	s_and_saveexec_b64 s[12:13], s[8:9]
	s_cbranch_execz .LBB22_1
; %bb.25:                               ;   in Loop: Header=BB22_2 Depth=1
	ds_write_b16 v0, v4
	s_branch .LBB22_1
.LBB22_26:
	v_mov_b32_e32 v1, s11
	v_add_co_u32_e32 v0, vcc, s10, v2
	v_addc_co_u32_e32 v1, vcc, v1, v3, vcc
	global_store_short v[0:1], v4, off
	s_endpgm
	.section	.rodata,"a",@progbits
	.p2align	6, 0x0
	.amdhsa_kernel _Z18warp_reduce_kernelILb0E6__halfLj61ELj100EEvPKT0_PS1_
		.amdhsa_group_segment_fixed_size 122
		.amdhsa_private_segment_fixed_size 0
		.amdhsa_kernarg_size 272
		.amdhsa_user_sgpr_count 6
		.amdhsa_user_sgpr_private_segment_buffer 1
		.amdhsa_user_sgpr_dispatch_ptr 0
		.amdhsa_user_sgpr_queue_ptr 0
		.amdhsa_user_sgpr_kernarg_segment_ptr 1
		.amdhsa_user_sgpr_dispatch_id 0
		.amdhsa_user_sgpr_flat_scratch_init 0
		.amdhsa_user_sgpr_kernarg_preload_length 0
		.amdhsa_user_sgpr_kernarg_preload_offset 0
		.amdhsa_user_sgpr_private_segment_size 0
		.amdhsa_uses_dynamic_stack 0
		.amdhsa_system_sgpr_private_segment_wavefront_offset 0
		.amdhsa_system_sgpr_workgroup_id_x 1
		.amdhsa_system_sgpr_workgroup_id_y 0
		.amdhsa_system_sgpr_workgroup_id_z 0
		.amdhsa_system_sgpr_workgroup_info 0
		.amdhsa_system_vgpr_workitem_id 0
		.amdhsa_next_free_vgpr 6
		.amdhsa_next_free_sgpr 15
		.amdhsa_accum_offset 8
		.amdhsa_reserve_vcc 1
		.amdhsa_reserve_flat_scratch 0
		.amdhsa_float_round_mode_32 0
		.amdhsa_float_round_mode_16_64 0
		.amdhsa_float_denorm_mode_32 3
		.amdhsa_float_denorm_mode_16_64 3
		.amdhsa_dx10_clamp 1
		.amdhsa_ieee_mode 1
		.amdhsa_fp16_overflow 0
		.amdhsa_tg_split 0
		.amdhsa_exception_fp_ieee_invalid_op 0
		.amdhsa_exception_fp_denorm_src 0
		.amdhsa_exception_fp_ieee_div_zero 0
		.amdhsa_exception_fp_ieee_overflow 0
		.amdhsa_exception_fp_ieee_underflow 0
		.amdhsa_exception_fp_ieee_inexact 0
		.amdhsa_exception_int_div_zero 0
	.end_amdhsa_kernel
	.section	.text._Z18warp_reduce_kernelILb0E6__halfLj61ELj100EEvPKT0_PS1_,"axG",@progbits,_Z18warp_reduce_kernelILb0E6__halfLj61ELj100EEvPKT0_PS1_,comdat
.Lfunc_end22:
	.size	_Z18warp_reduce_kernelILb0E6__halfLj61ELj100EEvPKT0_PS1_, .Lfunc_end22-_Z18warp_reduce_kernelILb0E6__halfLj61ELj100EEvPKT0_PS1_
                                        ; -- End function
	.section	.AMDGPU.csdata,"",@progbits
; Kernel info:
; codeLenInByte = 552
; NumSgprs: 19
; NumVgprs: 6
; NumAgprs: 0
; TotalNumVgprs: 6
; ScratchSize: 0
; MemoryBound: 0
; FloatMode: 240
; IeeeMode: 1
; LDSByteSize: 122 bytes/workgroup (compile time only)
; SGPRBlocks: 2
; VGPRBlocks: 0
; NumSGPRsForWavesPerEU: 19
; NumVGPRsForWavesPerEU: 6
; AccumOffset: 8
; Occupancy: 8
; WaveLimiterHint : 0
; COMPUTE_PGM_RSRC2:SCRATCH_EN: 0
; COMPUTE_PGM_RSRC2:USER_SGPR: 6
; COMPUTE_PGM_RSRC2:TRAP_HANDLER: 0
; COMPUTE_PGM_RSRC2:TGID_X_EN: 1
; COMPUTE_PGM_RSRC2:TGID_Y_EN: 0
; COMPUTE_PGM_RSRC2:TGID_Z_EN: 0
; COMPUTE_PGM_RSRC2:TIDIG_COMP_CNT: 0
; COMPUTE_PGM_RSRC3_GFX90A:ACCUM_OFFSET: 1
; COMPUTE_PGM_RSRC3_GFX90A:TG_SPLIT: 0
	.section	.text._Z18warp_reduce_kernelILb0E6__halfLj64ELj100EEvPKT0_PS1_,"axG",@progbits,_Z18warp_reduce_kernelILb0E6__halfLj64ELj100EEvPKT0_PS1_,comdat
	.protected	_Z18warp_reduce_kernelILb0E6__halfLj64ELj100EEvPKT0_PS1_ ; -- Begin function _Z18warp_reduce_kernelILb0E6__halfLj64ELj100EEvPKT0_PS1_
	.globl	_Z18warp_reduce_kernelILb0E6__halfLj64ELj100EEvPKT0_PS1_
	.p2align	8
	.type	_Z18warp_reduce_kernelILb0E6__halfLj64ELj100EEvPKT0_PS1_,@function
_Z18warp_reduce_kernelILb0E6__halfLj64ELj100EEvPKT0_PS1_: ; @_Z18warp_reduce_kernelILb0E6__halfLj64ELj100EEvPKT0_PS1_
; %bb.0:
	s_load_dword s7, s[4:5], 0x1c
	s_load_dwordx4 s[0:3], s[4:5], 0x0
	v_mov_b32_e32 v1, 0
	v_bfrev_b32_e32 v4, 0.5
	s_waitcnt lgkmcnt(0)
	s_and_b32 s4, s7, 0xffff
	s_mul_i32 s6, s6, s4
	v_add_u32_e32 v0, s6, v0
	v_lshlrev_b64 v[0:1], 1, v[0:1]
	v_mov_b32_e32 v3, s1
	v_add_co_u32_e32 v2, vcc, s0, v0
	v_addc_co_u32_e32 v3, vcc, v3, v1, vcc
	global_load_ushort v2, v[2:3], off
	v_mbcnt_lo_u32_b32 v3, -1, 0
	v_mbcnt_hi_u32_b32 v3, -1, v3
	v_lshl_or_b32 v3, v3, 2, v4
	s_movk_i32 s0, 0x64
.LBB23_1:                               ; =>This Inner Loop Header: Depth=1
	s_waitcnt vmcnt(0) lgkmcnt(0)
	v_and_b32_e32 v4, 0xffff, v2
	s_add_i32 s0, s0, -1
	s_cmp_eq_u32 s0, 0
	v_mov_b32_dpp v4, v4 quad_perm:[1,0,3,2] row_mask:0xf bank_mask:0xf
	v_add_f16_e32 v2, v2, v4
	s_nop 1
	v_mov_b32_dpp v4, v2 quad_perm:[2,3,0,1] row_mask:0xf bank_mask:0xf
	v_add_f16_e32 v2, v2, v4
	s_nop 1
	v_mov_b32_dpp v4, v2 row_ror:4 row_mask:0xf bank_mask:0xf
	v_add_f16_e32 v2, v2, v4
	s_nop 1
	v_mov_b32_dpp v4, v2 row_ror:8 row_mask:0xf bank_mask:0xf
	v_add_f16_e32 v2, v2, v4
	s_nop 1
	v_mov_b32_dpp v4, v2 row_bcast:15 row_mask:0xf bank_mask:0xf
	v_add_f16_e32 v2, v2, v4
	s_nop 1
	v_mov_b32_dpp v4, v2 row_bcast:31 row_mask:0xf bank_mask:0xf
	v_add_f16_e32 v2, v2, v4
	ds_bpermute_b32 v2, v3, v2
	s_cbranch_scc0 .LBB23_1
; %bb.2:
	v_mov_b32_e32 v3, s3
	v_add_co_u32_e32 v0, vcc, s2, v0
	v_addc_co_u32_e32 v1, vcc, v3, v1, vcc
	s_waitcnt lgkmcnt(0)
	global_store_short v[0:1], v2, off
	s_endpgm
	.section	.rodata,"a",@progbits
	.p2align	6, 0x0
	.amdhsa_kernel _Z18warp_reduce_kernelILb0E6__halfLj64ELj100EEvPKT0_PS1_
		.amdhsa_group_segment_fixed_size 0
		.amdhsa_private_segment_fixed_size 0
		.amdhsa_kernarg_size 272
		.amdhsa_user_sgpr_count 6
		.amdhsa_user_sgpr_private_segment_buffer 1
		.amdhsa_user_sgpr_dispatch_ptr 0
		.amdhsa_user_sgpr_queue_ptr 0
		.amdhsa_user_sgpr_kernarg_segment_ptr 1
		.amdhsa_user_sgpr_dispatch_id 0
		.amdhsa_user_sgpr_flat_scratch_init 0
		.amdhsa_user_sgpr_kernarg_preload_length 0
		.amdhsa_user_sgpr_kernarg_preload_offset 0
		.amdhsa_user_sgpr_private_segment_size 0
		.amdhsa_uses_dynamic_stack 0
		.amdhsa_system_sgpr_private_segment_wavefront_offset 0
		.amdhsa_system_sgpr_workgroup_id_x 1
		.amdhsa_system_sgpr_workgroup_id_y 0
		.amdhsa_system_sgpr_workgroup_id_z 0
		.amdhsa_system_sgpr_workgroup_info 0
		.amdhsa_system_vgpr_workitem_id 0
		.amdhsa_next_free_vgpr 5
		.amdhsa_next_free_sgpr 8
		.amdhsa_accum_offset 8
		.amdhsa_reserve_vcc 1
		.amdhsa_reserve_flat_scratch 0
		.amdhsa_float_round_mode_32 0
		.amdhsa_float_round_mode_16_64 0
		.amdhsa_float_denorm_mode_32 3
		.amdhsa_float_denorm_mode_16_64 3
		.amdhsa_dx10_clamp 1
		.amdhsa_ieee_mode 1
		.amdhsa_fp16_overflow 0
		.amdhsa_tg_split 0
		.amdhsa_exception_fp_ieee_invalid_op 0
		.amdhsa_exception_fp_denorm_src 0
		.amdhsa_exception_fp_ieee_div_zero 0
		.amdhsa_exception_fp_ieee_overflow 0
		.amdhsa_exception_fp_ieee_underflow 0
		.amdhsa_exception_fp_ieee_inexact 0
		.amdhsa_exception_int_div_zero 0
	.end_amdhsa_kernel
	.section	.text._Z18warp_reduce_kernelILb0E6__halfLj64ELj100EEvPKT0_PS1_,"axG",@progbits,_Z18warp_reduce_kernelILb0E6__halfLj64ELj100EEvPKT0_PS1_,comdat
.Lfunc_end23:
	.size	_Z18warp_reduce_kernelILb0E6__halfLj64ELj100EEvPKT0_PS1_, .Lfunc_end23-_Z18warp_reduce_kernelILb0E6__halfLj64ELj100EEvPKT0_PS1_
                                        ; -- End function
	.section	.AMDGPU.csdata,"",@progbits
; Kernel info:
; codeLenInByte = 252
; NumSgprs: 12
; NumVgprs: 5
; NumAgprs: 0
; TotalNumVgprs: 5
; ScratchSize: 0
; MemoryBound: 0
; FloatMode: 240
; IeeeMode: 1
; LDSByteSize: 0 bytes/workgroup (compile time only)
; SGPRBlocks: 1
; VGPRBlocks: 0
; NumSGPRsForWavesPerEU: 12
; NumVGPRsForWavesPerEU: 5
; AccumOffset: 8
; Occupancy: 8
; WaveLimiterHint : 0
; COMPUTE_PGM_RSRC2:SCRATCH_EN: 0
; COMPUTE_PGM_RSRC2:USER_SGPR: 6
; COMPUTE_PGM_RSRC2:TRAP_HANDLER: 0
; COMPUTE_PGM_RSRC2:TGID_X_EN: 1
; COMPUTE_PGM_RSRC2:TGID_Y_EN: 0
; COMPUTE_PGM_RSRC2:TGID_Z_EN: 0
; COMPUTE_PGM_RSRC2:TIDIG_COMP_CNT: 0
; COMPUTE_PGM_RSRC3_GFX90A:ACCUM_OFFSET: 1
; COMPUTE_PGM_RSRC3_GFX90A:TG_SPLIT: 0
	.section	.text._Z18warp_reduce_kernelILb0EnLj32ELj100EEvPKT0_PS0_,"axG",@progbits,_Z18warp_reduce_kernelILb0EnLj32ELj100EEvPKT0_PS0_,comdat
	.protected	_Z18warp_reduce_kernelILb0EnLj32ELj100EEvPKT0_PS0_ ; -- Begin function _Z18warp_reduce_kernelILb0EnLj32ELj100EEvPKT0_PS0_
	.globl	_Z18warp_reduce_kernelILb0EnLj32ELj100EEvPKT0_PS0_
	.p2align	8
	.type	_Z18warp_reduce_kernelILb0EnLj32ELj100EEvPKT0_PS0_,@function
_Z18warp_reduce_kernelILb0EnLj32ELj100EEvPKT0_PS0_: ; @_Z18warp_reduce_kernelILb0EnLj32ELj100EEvPKT0_PS0_
; %bb.0:
	s_load_dword s7, s[4:5], 0x1c
	s_load_dwordx4 s[0:3], s[4:5], 0x0
	v_mov_b32_e32 v1, 0
	v_mbcnt_lo_u32_b32 v6, -1, 0
	v_mbcnt_hi_u32_b32 v10, -1, v6
	s_waitcnt lgkmcnt(0)
	s_and_b32 s4, s7, 0xffff
	s_mul_i32 s6, s6, s4
	v_add_u32_e32 v0, s6, v0
	v_lshlrev_b64 v[4:5], 4, v[0:1]
	v_mov_b32_e32 v1, s1
	v_add_co_u32_e32 v0, vcc, s0, v4
	v_addc_co_u32_e32 v1, vcc, v1, v5, vcc
	global_load_dwordx4 v[0:3], v[0:1], off
	v_and_b32_e32 v11, 31, v10
	v_cmp_ne_u32_e32 vcc, 31, v11
	v_addc_co_u32_e32 v6, vcc, 0, v10, vcc
	v_cmp_gt_u32_e32 vcc, 30, v11
	v_cndmask_b32_e64 v7, 0, 1, vcc
	v_cmp_gt_u32_e32 vcc, 28, v11
	v_cndmask_b32_e64 v8, 0, 1, vcc
	;; [unrolled: 2-line block ×4, first 2 shown]
	v_lshlrev_b32_e32 v7, 1, v7
	v_lshlrev_b32_e32 v8, 2, v8
	;; [unrolled: 1-line block ×5, first 2 shown]
	v_add_lshl_u32 v7, v7, v10, 2
	v_add_lshl_u32 v8, v8, v10, 2
	;; [unrolled: 1-line block ×4, first 2 shown]
	s_movk_i32 s0, 0x64
.LBB24_1:                               ; =>This Inner Loop Header: Depth=1
	s_waitcnt vmcnt(0)
	ds_bpermute_b32 v11, v6, v0
	ds_bpermute_b32 v12, v6, v1
	;; [unrolled: 1-line block ×4, first 2 shown]
	s_add_i32 s0, s0, -1
	s_waitcnt lgkmcnt(3)
	v_add_co_u32_e32 v0, vcc, v0, v11
	v_addc_co_u32_e32 v1, vcc, 0, v1, vcc
	v_addc_co_u32_e32 v2, vcc, 0, v2, vcc
	;; [unrolled: 1-line block ×3, first 2 shown]
	v_add_co_u32_e32 v11, vcc, 0, v0
	s_waitcnt lgkmcnt(2)
	v_addc_co_u32_e32 v1, vcc, v12, v1, vcc
	v_addc_co_u32_e32 v2, vcc, 0, v2, vcc
	v_addc_co_u32_e32 v3, vcc, 0, v3, vcc
	ds_bpermute_b32 v0, v7, v0
	s_waitcnt lgkmcnt(2)
	v_add_co_u32_e32 v2, vcc, v2, v13
	v_addc_co_u32_e32 v3, vcc, 0, v3, vcc
	v_add_co_u32_e32 v12, vcc, 0, v2
	s_waitcnt lgkmcnt(1)
	v_addc_co_u32_e32 v3, vcc, v3, v14, vcc
	ds_bpermute_b32 v13, v7, v1
	s_waitcnt lgkmcnt(1)
	v_add_co_u32_e32 v0, vcc, v11, v0
	v_addc_co_u32_e32 v1, vcc, 0, v1, vcc
	v_addc_co_u32_e32 v11, vcc, 0, v12, vcc
	ds_bpermute_b32 v2, v7, v2
	ds_bpermute_b32 v14, v7, v3
	v_addc_co_u32_e32 v3, vcc, 0, v3, vcc
	v_add_co_u32_e32 v12, vcc, 0, v0
	s_waitcnt lgkmcnt(2)
	v_addc_co_u32_e32 v1, vcc, v1, v13, vcc
	v_addc_co_u32_e32 v11, vcc, 0, v11, vcc
	v_addc_co_u32_e32 v3, vcc, 0, v3, vcc
	ds_bpermute_b32 v0, v8, v0
	s_waitcnt lgkmcnt(2)
	v_add_co_u32_e32 v2, vcc, v11, v2
	v_addc_co_u32_e32 v3, vcc, 0, v3, vcc
	v_add_co_u32_e32 v11, vcc, 0, v2
	s_waitcnt lgkmcnt(1)
	v_addc_co_u32_e32 v3, vcc, v3, v14, vcc
	ds_bpermute_b32 v13, v8, v1
	s_waitcnt lgkmcnt(1)
	v_add_co_u32_e32 v0, vcc, v12, v0
	v_addc_co_u32_e32 v1, vcc, 0, v1, vcc
	v_addc_co_u32_e32 v11, vcc, 0, v11, vcc
	ds_bpermute_b32 v2, v8, v2
	ds_bpermute_b32 v14, v8, v3
	v_addc_co_u32_e32 v3, vcc, 0, v3, vcc
	;; [unrolled: 20-line block ×4, first 2 shown]
	v_add_co_u32_e32 v0, vcc, 0, v0
	s_waitcnt lgkmcnt(2)
	v_addc_co_u32_e32 v1, vcc, v1, v13, vcc
	v_addc_co_u32_e32 v11, vcc, 0, v11, vcc
	;; [unrolled: 1-line block ×3, first 2 shown]
	s_waitcnt lgkmcnt(1)
	v_add_co_u32_e32 v2, vcc, v11, v2
	v_addc_co_u32_e32 v3, vcc, 0, v3, vcc
	v_add_co_u32_e32 v2, vcc, 0, v2
	s_cmp_eq_u32 s0, 0
	s_waitcnt lgkmcnt(0)
	v_addc_co_u32_e32 v3, vcc, v3, v14, vcc
	s_cbranch_scc0 .LBB24_1
; %bb.2:
	v_mov_b32_e32 v6, s3
	v_add_co_u32_e32 v4, vcc, s2, v4
	v_addc_co_u32_e32 v5, vcc, v6, v5, vcc
	global_store_dwordx4 v[4:5], v[0:3], off
	s_endpgm
	.section	.rodata,"a",@progbits
	.p2align	6, 0x0
	.amdhsa_kernel _Z18warp_reduce_kernelILb0EnLj32ELj100EEvPKT0_PS0_
		.amdhsa_group_segment_fixed_size 0
		.amdhsa_private_segment_fixed_size 0
		.amdhsa_kernarg_size 272
		.amdhsa_user_sgpr_count 6
		.amdhsa_user_sgpr_private_segment_buffer 1
		.amdhsa_user_sgpr_dispatch_ptr 0
		.amdhsa_user_sgpr_queue_ptr 0
		.amdhsa_user_sgpr_kernarg_segment_ptr 1
		.amdhsa_user_sgpr_dispatch_id 0
		.amdhsa_user_sgpr_flat_scratch_init 0
		.amdhsa_user_sgpr_kernarg_preload_length 0
		.amdhsa_user_sgpr_kernarg_preload_offset 0
		.amdhsa_user_sgpr_private_segment_size 0
		.amdhsa_uses_dynamic_stack 0
		.amdhsa_system_sgpr_private_segment_wavefront_offset 0
		.amdhsa_system_sgpr_workgroup_id_x 1
		.amdhsa_system_sgpr_workgroup_id_y 0
		.amdhsa_system_sgpr_workgroup_id_z 0
		.amdhsa_system_sgpr_workgroup_info 0
		.amdhsa_system_vgpr_workitem_id 0
		.amdhsa_next_free_vgpr 15
		.amdhsa_next_free_sgpr 8
		.amdhsa_accum_offset 16
		.amdhsa_reserve_vcc 1
		.amdhsa_reserve_flat_scratch 0
		.amdhsa_float_round_mode_32 0
		.amdhsa_float_round_mode_16_64 0
		.amdhsa_float_denorm_mode_32 3
		.amdhsa_float_denorm_mode_16_64 3
		.amdhsa_dx10_clamp 1
		.amdhsa_ieee_mode 1
		.amdhsa_fp16_overflow 0
		.amdhsa_tg_split 0
		.amdhsa_exception_fp_ieee_invalid_op 0
		.amdhsa_exception_fp_denorm_src 0
		.amdhsa_exception_fp_ieee_div_zero 0
		.amdhsa_exception_fp_ieee_overflow 0
		.amdhsa_exception_fp_ieee_underflow 0
		.amdhsa_exception_fp_ieee_inexact 0
		.amdhsa_exception_int_div_zero 0
	.end_amdhsa_kernel
	.section	.text._Z18warp_reduce_kernelILb0EnLj32ELj100EEvPKT0_PS0_,"axG",@progbits,_Z18warp_reduce_kernelILb0EnLj32ELj100EEvPKT0_PS0_,comdat
.Lfunc_end24:
	.size	_Z18warp_reduce_kernelILb0EnLj32ELj100EEvPKT0_PS0_, .Lfunc_end24-_Z18warp_reduce_kernelILb0EnLj32ELj100EEvPKT0_PS0_
                                        ; -- End function
	.section	.AMDGPU.csdata,"",@progbits
; Kernel info:
; codeLenInByte = 720
; NumSgprs: 12
; NumVgprs: 15
; NumAgprs: 0
; TotalNumVgprs: 15
; ScratchSize: 0
; MemoryBound: 0
; FloatMode: 240
; IeeeMode: 1
; LDSByteSize: 0 bytes/workgroup (compile time only)
; SGPRBlocks: 1
; VGPRBlocks: 1
; NumSGPRsForWavesPerEU: 12
; NumVGPRsForWavesPerEU: 15
; AccumOffset: 16
; Occupancy: 8
; WaveLimiterHint : 0
; COMPUTE_PGM_RSRC2:SCRATCH_EN: 0
; COMPUTE_PGM_RSRC2:USER_SGPR: 6
; COMPUTE_PGM_RSRC2:TRAP_HANDLER: 0
; COMPUTE_PGM_RSRC2:TGID_X_EN: 1
; COMPUTE_PGM_RSRC2:TGID_Y_EN: 0
; COMPUTE_PGM_RSRC2:TGID_Z_EN: 0
; COMPUTE_PGM_RSRC2:TIDIG_COMP_CNT: 0
; COMPUTE_PGM_RSRC3_GFX90A:ACCUM_OFFSET: 3
; COMPUTE_PGM_RSRC3_GFX90A:TG_SPLIT: 0
	.section	.text._Z18warp_reduce_kernelILb0EnLj37ELj100EEvPKT0_PS0_,"axG",@progbits,_Z18warp_reduce_kernelILb0EnLj37ELj100EEvPKT0_PS0_,comdat
	.protected	_Z18warp_reduce_kernelILb0EnLj37ELj100EEvPKT0_PS0_ ; -- Begin function _Z18warp_reduce_kernelILb0EnLj37ELj100EEvPKT0_PS0_
	.globl	_Z18warp_reduce_kernelILb0EnLj37ELj100EEvPKT0_PS0_
	.p2align	8
	.type	_Z18warp_reduce_kernelILb0EnLj37ELj100EEvPKT0_PS0_,@function
_Z18warp_reduce_kernelILb0EnLj37ELj100EEvPKT0_PS0_: ; @_Z18warp_reduce_kernelILb0EnLj37ELj100EEvPKT0_PS0_
; %bb.0:
	s_load_dword s0, s[4:5], 0x1c
	s_load_dwordx4 s[12:15], s[4:5], 0x0
	v_mov_b32_e32 v5, 0
	s_movk_i32 s16, 0x64
	s_waitcnt lgkmcnt(0)
	s_and_b32 s0, s0, 0xffff
	s_mul_i32 s6, s6, s0
	v_add_u32_e32 v4, s6, v0
	v_lshlrev_b64 v[6:7], 4, v[4:5]
	v_mov_b32_e32 v1, s13
	v_add_co_u32_e32 v0, vcc, s12, v6
	v_addc_co_u32_e32 v1, vcc, v1, v7, vcc
	global_load_dwordx4 v[0:3], v[0:1], off
	v_mbcnt_lo_u32_b32 v4, -1, 0
	v_mbcnt_hi_u32_b32 v4, -1, v4
	s_mov_b32 s0, 0x6eb3e46
	v_mul_hi_u32 v8, v4, s0
	v_mul_u32_u24_e32 v8, 37, v8
	v_sub_u32_e32 v8, v4, v8
	v_lshlrev_b32_e32 v4, 4, v8
	v_cmp_gt_u32_e64 s[0:1], 5, v8
	v_cmp_gt_u32_e64 s[2:3], 16, v8
	;; [unrolled: 1-line block ×5, first 2 shown]
	v_cmp_eq_u32_e64 s[10:11], 0, v8
	s_branch .LBB25_2
.LBB25_1:                               ;   in Loop: Header=BB25_2 Depth=1
	s_or_b64 exec, exec, s[12:13]
	s_add_i32 s16, s16, -1
	s_cmp_eq_u32 s16, 0
	; wave barrier
	s_cbranch_scc1 .LBB25_26
.LBB25_2:                               ; =>This Inner Loop Header: Depth=1
	s_waitcnt vmcnt(0)
	ds_write_b128 v4, v[0:3]
	; wave barrier
	s_and_saveexec_b64 s[12:13], s[0:1]
	s_cbranch_execz .LBB25_4
; %bb.3:                                ;   in Loop: Header=BB25_2 Depth=1
	ds_read_b128 v[0:3], v4
	ds_read_b128 v[8:11], v4 offset:512
	s_waitcnt lgkmcnt(0)
	v_add_co_u32_e32 v0, vcc, v8, v0
	v_addc_co_u32_e32 v1, vcc, v9, v1, vcc
	v_addc_co_u32_e32 v2, vcc, v10, v2, vcc
	;; [unrolled: 1-line block ×3, first 2 shown]
.LBB25_4:                               ;   in Loop: Header=BB25_2 Depth=1
	s_or_b64 exec, exec, s[12:13]
	; wave barrier
	s_and_saveexec_b64 s[12:13], s[0:1]
	s_cbranch_execz .LBB25_6
; %bb.5:                                ;   in Loop: Header=BB25_2 Depth=1
	ds_write_b128 v4, v[0:3]
.LBB25_6:                               ;   in Loop: Header=BB25_2 Depth=1
	s_or_b64 exec, exec, s[12:13]
	; wave barrier
	s_and_saveexec_b64 s[12:13], s[2:3]
	s_cbranch_execz .LBB25_8
; %bb.7:                                ;   in Loop: Header=BB25_2 Depth=1
	ds_read_b128 v[0:3], v4
	ds_read_b128 v[8:11], v4 offset:256
	s_waitcnt lgkmcnt(0)
	v_add_co_u32_e32 v0, vcc, v8, v0
	v_addc_co_u32_e32 v1, vcc, v9, v1, vcc
	v_addc_co_u32_e32 v2, vcc, v10, v2, vcc
	;; [unrolled: 1-line block ×3, first 2 shown]
.LBB25_8:                               ;   in Loop: Header=BB25_2 Depth=1
	s_or_b64 exec, exec, s[12:13]
	; wave barrier
	s_and_saveexec_b64 s[12:13], s[2:3]
	s_cbranch_execz .LBB25_10
; %bb.9:                                ;   in Loop: Header=BB25_2 Depth=1
	ds_write_b128 v4, v[0:3]
.LBB25_10:                              ;   in Loop: Header=BB25_2 Depth=1
	s_or_b64 exec, exec, s[12:13]
	; wave barrier
	s_and_saveexec_b64 s[12:13], s[4:5]
	s_cbranch_execz .LBB25_12
; %bb.11:                               ;   in Loop: Header=BB25_2 Depth=1
	ds_read_b128 v[0:3], v4
	ds_read_b128 v[8:11], v4 offset:128
	s_waitcnt lgkmcnt(0)
	v_add_co_u32_e32 v0, vcc, v8, v0
	v_addc_co_u32_e32 v1, vcc, v9, v1, vcc
	v_addc_co_u32_e32 v2, vcc, v10, v2, vcc
	v_addc_co_u32_e32 v3, vcc, v11, v3, vcc
.LBB25_12:                              ;   in Loop: Header=BB25_2 Depth=1
	s_or_b64 exec, exec, s[12:13]
	; wave barrier
	s_and_saveexec_b64 s[12:13], s[4:5]
	s_cbranch_execz .LBB25_14
; %bb.13:                               ;   in Loop: Header=BB25_2 Depth=1
	ds_write_b128 v4, v[0:3]
.LBB25_14:                              ;   in Loop: Header=BB25_2 Depth=1
	s_or_b64 exec, exec, s[12:13]
	; wave barrier
	s_and_saveexec_b64 s[12:13], s[6:7]
	s_cbranch_execz .LBB25_16
; %bb.15:                               ;   in Loop: Header=BB25_2 Depth=1
	ds_read_b128 v[0:3], v4
	ds_read_b128 v[8:11], v4 offset:64
	s_waitcnt lgkmcnt(0)
	v_add_co_u32_e32 v0, vcc, v8, v0
	v_addc_co_u32_e32 v1, vcc, v9, v1, vcc
	v_addc_co_u32_e32 v2, vcc, v10, v2, vcc
	v_addc_co_u32_e32 v3, vcc, v11, v3, vcc
.LBB25_16:                              ;   in Loop: Header=BB25_2 Depth=1
	s_or_b64 exec, exec, s[12:13]
	; wave barrier
	s_and_saveexec_b64 s[12:13], s[6:7]
	s_cbranch_execz .LBB25_18
; %bb.17:                               ;   in Loop: Header=BB25_2 Depth=1
	ds_write_b128 v4, v[0:3]
.LBB25_18:                              ;   in Loop: Header=BB25_2 Depth=1
	;; [unrolled: 20-line block ×3, first 2 shown]
	s_or_b64 exec, exec, s[12:13]
	; wave barrier
	s_and_saveexec_b64 s[12:13], s[10:11]
	s_cbranch_execz .LBB25_24
; %bb.23:                               ;   in Loop: Header=BB25_2 Depth=1
	ds_read_b128 v[0:3], v4
	ds_read_b128 v[8:11], v5 offset:16
	s_waitcnt lgkmcnt(0)
	v_add_co_u32_e32 v0, vcc, v8, v0
	v_addc_co_u32_e32 v1, vcc, v9, v1, vcc
	v_addc_co_u32_e32 v2, vcc, v10, v2, vcc
	;; [unrolled: 1-line block ×3, first 2 shown]
.LBB25_24:                              ;   in Loop: Header=BB25_2 Depth=1
	s_or_b64 exec, exec, s[12:13]
	; wave barrier
	s_and_saveexec_b64 s[12:13], s[10:11]
	s_cbranch_execz .LBB25_1
; %bb.25:                               ;   in Loop: Header=BB25_2 Depth=1
	ds_write_b128 v4, v[0:3]
	s_branch .LBB25_1
.LBB25_26:
	v_mov_b32_e32 v5, s15
	v_add_co_u32_e32 v4, vcc, s14, v6
	v_addc_co_u32_e32 v5, vcc, v5, v7, vcc
	global_store_dwordx4 v[4:5], v[0:3], off
	s_endpgm
	.section	.rodata,"a",@progbits
	.p2align	6, 0x0
	.amdhsa_kernel _Z18warp_reduce_kernelILb0EnLj37ELj100EEvPKT0_PS0_
		.amdhsa_group_segment_fixed_size 592
		.amdhsa_private_segment_fixed_size 0
		.amdhsa_kernarg_size 272
		.amdhsa_user_sgpr_count 6
		.amdhsa_user_sgpr_private_segment_buffer 1
		.amdhsa_user_sgpr_dispatch_ptr 0
		.amdhsa_user_sgpr_queue_ptr 0
		.amdhsa_user_sgpr_kernarg_segment_ptr 1
		.amdhsa_user_sgpr_dispatch_id 0
		.amdhsa_user_sgpr_flat_scratch_init 0
		.amdhsa_user_sgpr_kernarg_preload_length 0
		.amdhsa_user_sgpr_kernarg_preload_offset 0
		.amdhsa_user_sgpr_private_segment_size 0
		.amdhsa_uses_dynamic_stack 0
		.amdhsa_system_sgpr_private_segment_wavefront_offset 0
		.amdhsa_system_sgpr_workgroup_id_x 1
		.amdhsa_system_sgpr_workgroup_id_y 0
		.amdhsa_system_sgpr_workgroup_id_z 0
		.amdhsa_system_sgpr_workgroup_info 0
		.amdhsa_system_vgpr_workitem_id 0
		.amdhsa_next_free_vgpr 12
		.amdhsa_next_free_sgpr 17
		.amdhsa_accum_offset 12
		.amdhsa_reserve_vcc 1
		.amdhsa_reserve_flat_scratch 0
		.amdhsa_float_round_mode_32 0
		.amdhsa_float_round_mode_16_64 0
		.amdhsa_float_denorm_mode_32 3
		.amdhsa_float_denorm_mode_16_64 3
		.amdhsa_dx10_clamp 1
		.amdhsa_ieee_mode 1
		.amdhsa_fp16_overflow 0
		.amdhsa_tg_split 0
		.amdhsa_exception_fp_ieee_invalid_op 0
		.amdhsa_exception_fp_denorm_src 0
		.amdhsa_exception_fp_ieee_div_zero 0
		.amdhsa_exception_fp_ieee_overflow 0
		.amdhsa_exception_fp_ieee_underflow 0
		.amdhsa_exception_fp_ieee_inexact 0
		.amdhsa_exception_int_div_zero 0
	.end_amdhsa_kernel
	.section	.text._Z18warp_reduce_kernelILb0EnLj37ELj100EEvPKT0_PS0_,"axG",@progbits,_Z18warp_reduce_kernelILb0EnLj37ELj100EEvPKT0_PS0_,comdat
.Lfunc_end25:
	.size	_Z18warp_reduce_kernelILb0EnLj37ELj100EEvPKT0_PS0_, .Lfunc_end25-_Z18warp_reduce_kernelILb0EnLj37ELj100EEvPKT0_PS0_
                                        ; -- End function
	.section	.AMDGPU.csdata,"",@progbits
; Kernel info:
; codeLenInByte = 628
; NumSgprs: 21
; NumVgprs: 12
; NumAgprs: 0
; TotalNumVgprs: 12
; ScratchSize: 0
; MemoryBound: 0
; FloatMode: 240
; IeeeMode: 1
; LDSByteSize: 592 bytes/workgroup (compile time only)
; SGPRBlocks: 2
; VGPRBlocks: 1
; NumSGPRsForWavesPerEU: 21
; NumVGPRsForWavesPerEU: 12
; AccumOffset: 12
; Occupancy: 8
; WaveLimiterHint : 0
; COMPUTE_PGM_RSRC2:SCRATCH_EN: 0
; COMPUTE_PGM_RSRC2:USER_SGPR: 6
; COMPUTE_PGM_RSRC2:TRAP_HANDLER: 0
; COMPUTE_PGM_RSRC2:TGID_X_EN: 1
; COMPUTE_PGM_RSRC2:TGID_Y_EN: 0
; COMPUTE_PGM_RSRC2:TGID_Z_EN: 0
; COMPUTE_PGM_RSRC2:TIDIG_COMP_CNT: 0
; COMPUTE_PGM_RSRC3_GFX90A:ACCUM_OFFSET: 2
; COMPUTE_PGM_RSRC3_GFX90A:TG_SPLIT: 0
	.section	.text._Z18warp_reduce_kernelILb0EnLj61ELj100EEvPKT0_PS0_,"axG",@progbits,_Z18warp_reduce_kernelILb0EnLj61ELj100EEvPKT0_PS0_,comdat
	.protected	_Z18warp_reduce_kernelILb0EnLj61ELj100EEvPKT0_PS0_ ; -- Begin function _Z18warp_reduce_kernelILb0EnLj61ELj100EEvPKT0_PS0_
	.globl	_Z18warp_reduce_kernelILb0EnLj61ELj100EEvPKT0_PS0_
	.p2align	8
	.type	_Z18warp_reduce_kernelILb0EnLj61ELj100EEvPKT0_PS0_,@function
_Z18warp_reduce_kernelILb0EnLj61ELj100EEvPKT0_PS0_: ; @_Z18warp_reduce_kernelILb0EnLj61ELj100EEvPKT0_PS0_
; %bb.0:
	s_load_dword s0, s[4:5], 0x1c
	s_load_dwordx4 s[12:15], s[4:5], 0x0
	v_mov_b32_e32 v5, 0
	s_movk_i32 s16, 0x64
	s_waitcnt lgkmcnt(0)
	s_and_b32 s0, s0, 0xffff
	s_mul_i32 s6, s6, s0
	v_add_u32_e32 v4, s6, v0
	v_lshlrev_b64 v[6:7], 4, v[4:5]
	v_mov_b32_e32 v1, s13
	v_add_co_u32_e32 v0, vcc, s12, v6
	v_addc_co_u32_e32 v1, vcc, v1, v7, vcc
	global_load_dwordx4 v[0:3], v[0:1], off
	v_mbcnt_lo_u32_b32 v4, -1, 0
	v_mbcnt_hi_u32_b32 v4, -1, v4
	s_mov_b32 s0, 0x4325c54
	v_mul_hi_u32 v8, v4, s0
	v_mul_u32_u24_e32 v8, 61, v8
	v_sub_u32_e32 v8, v4, v8
	v_lshlrev_b32_e32 v4, 4, v8
	v_cmp_gt_u32_e64 s[0:1], 29, v8
	v_cmp_gt_u32_e64 s[2:3], 16, v8
	;; [unrolled: 1-line block ×5, first 2 shown]
	v_cmp_eq_u32_e64 s[10:11], 0, v8
	s_branch .LBB26_2
.LBB26_1:                               ;   in Loop: Header=BB26_2 Depth=1
	s_or_b64 exec, exec, s[12:13]
	s_add_i32 s16, s16, -1
	s_cmp_eq_u32 s16, 0
	; wave barrier
	s_cbranch_scc1 .LBB26_26
.LBB26_2:                               ; =>This Inner Loop Header: Depth=1
	s_waitcnt vmcnt(0)
	ds_write_b128 v4, v[0:3]
	; wave barrier
	s_and_saveexec_b64 s[12:13], s[0:1]
	s_cbranch_execz .LBB26_4
; %bb.3:                                ;   in Loop: Header=BB26_2 Depth=1
	ds_read_b128 v[0:3], v4
	ds_read_b128 v[8:11], v4 offset:512
	s_waitcnt lgkmcnt(0)
	v_add_co_u32_e32 v0, vcc, v8, v0
	v_addc_co_u32_e32 v1, vcc, v9, v1, vcc
	v_addc_co_u32_e32 v2, vcc, v10, v2, vcc
	;; [unrolled: 1-line block ×3, first 2 shown]
.LBB26_4:                               ;   in Loop: Header=BB26_2 Depth=1
	s_or_b64 exec, exec, s[12:13]
	; wave barrier
	s_and_saveexec_b64 s[12:13], s[0:1]
	s_cbranch_execz .LBB26_6
; %bb.5:                                ;   in Loop: Header=BB26_2 Depth=1
	ds_write_b128 v4, v[0:3]
.LBB26_6:                               ;   in Loop: Header=BB26_2 Depth=1
	s_or_b64 exec, exec, s[12:13]
	; wave barrier
	s_and_saveexec_b64 s[12:13], s[2:3]
	s_cbranch_execz .LBB26_8
; %bb.7:                                ;   in Loop: Header=BB26_2 Depth=1
	ds_read_b128 v[0:3], v4
	ds_read_b128 v[8:11], v4 offset:256
	s_waitcnt lgkmcnt(0)
	v_add_co_u32_e32 v0, vcc, v8, v0
	v_addc_co_u32_e32 v1, vcc, v9, v1, vcc
	v_addc_co_u32_e32 v2, vcc, v10, v2, vcc
	;; [unrolled: 1-line block ×3, first 2 shown]
.LBB26_8:                               ;   in Loop: Header=BB26_2 Depth=1
	s_or_b64 exec, exec, s[12:13]
	; wave barrier
	s_and_saveexec_b64 s[12:13], s[2:3]
	s_cbranch_execz .LBB26_10
; %bb.9:                                ;   in Loop: Header=BB26_2 Depth=1
	ds_write_b128 v4, v[0:3]
.LBB26_10:                              ;   in Loop: Header=BB26_2 Depth=1
	s_or_b64 exec, exec, s[12:13]
	; wave barrier
	s_and_saveexec_b64 s[12:13], s[4:5]
	s_cbranch_execz .LBB26_12
; %bb.11:                               ;   in Loop: Header=BB26_2 Depth=1
	ds_read_b128 v[0:3], v4
	ds_read_b128 v[8:11], v4 offset:128
	s_waitcnt lgkmcnt(0)
	v_add_co_u32_e32 v0, vcc, v8, v0
	v_addc_co_u32_e32 v1, vcc, v9, v1, vcc
	v_addc_co_u32_e32 v2, vcc, v10, v2, vcc
	v_addc_co_u32_e32 v3, vcc, v11, v3, vcc
.LBB26_12:                              ;   in Loop: Header=BB26_2 Depth=1
	s_or_b64 exec, exec, s[12:13]
	; wave barrier
	s_and_saveexec_b64 s[12:13], s[4:5]
	s_cbranch_execz .LBB26_14
; %bb.13:                               ;   in Loop: Header=BB26_2 Depth=1
	ds_write_b128 v4, v[0:3]
.LBB26_14:                              ;   in Loop: Header=BB26_2 Depth=1
	s_or_b64 exec, exec, s[12:13]
	; wave barrier
	s_and_saveexec_b64 s[12:13], s[6:7]
	s_cbranch_execz .LBB26_16
; %bb.15:                               ;   in Loop: Header=BB26_2 Depth=1
	ds_read_b128 v[0:3], v4
	ds_read_b128 v[8:11], v4 offset:64
	s_waitcnt lgkmcnt(0)
	v_add_co_u32_e32 v0, vcc, v8, v0
	v_addc_co_u32_e32 v1, vcc, v9, v1, vcc
	v_addc_co_u32_e32 v2, vcc, v10, v2, vcc
	v_addc_co_u32_e32 v3, vcc, v11, v3, vcc
.LBB26_16:                              ;   in Loop: Header=BB26_2 Depth=1
	s_or_b64 exec, exec, s[12:13]
	; wave barrier
	s_and_saveexec_b64 s[12:13], s[6:7]
	s_cbranch_execz .LBB26_18
; %bb.17:                               ;   in Loop: Header=BB26_2 Depth=1
	ds_write_b128 v4, v[0:3]
.LBB26_18:                              ;   in Loop: Header=BB26_2 Depth=1
	;; [unrolled: 20-line block ×3, first 2 shown]
	s_or_b64 exec, exec, s[12:13]
	; wave barrier
	s_and_saveexec_b64 s[12:13], s[10:11]
	s_cbranch_execz .LBB26_24
; %bb.23:                               ;   in Loop: Header=BB26_2 Depth=1
	ds_read_b128 v[0:3], v4
	ds_read_b128 v[8:11], v5 offset:16
	s_waitcnt lgkmcnt(0)
	v_add_co_u32_e32 v0, vcc, v8, v0
	v_addc_co_u32_e32 v1, vcc, v9, v1, vcc
	v_addc_co_u32_e32 v2, vcc, v10, v2, vcc
	;; [unrolled: 1-line block ×3, first 2 shown]
.LBB26_24:                              ;   in Loop: Header=BB26_2 Depth=1
	s_or_b64 exec, exec, s[12:13]
	; wave barrier
	s_and_saveexec_b64 s[12:13], s[10:11]
	s_cbranch_execz .LBB26_1
; %bb.25:                               ;   in Loop: Header=BB26_2 Depth=1
	ds_write_b128 v4, v[0:3]
	s_branch .LBB26_1
.LBB26_26:
	v_mov_b32_e32 v5, s15
	v_add_co_u32_e32 v4, vcc, s14, v6
	v_addc_co_u32_e32 v5, vcc, v5, v7, vcc
	global_store_dwordx4 v[4:5], v[0:3], off
	s_endpgm
	.section	.rodata,"a",@progbits
	.p2align	6, 0x0
	.amdhsa_kernel _Z18warp_reduce_kernelILb0EnLj61ELj100EEvPKT0_PS0_
		.amdhsa_group_segment_fixed_size 976
		.amdhsa_private_segment_fixed_size 0
		.amdhsa_kernarg_size 272
		.amdhsa_user_sgpr_count 6
		.amdhsa_user_sgpr_private_segment_buffer 1
		.amdhsa_user_sgpr_dispatch_ptr 0
		.amdhsa_user_sgpr_queue_ptr 0
		.amdhsa_user_sgpr_kernarg_segment_ptr 1
		.amdhsa_user_sgpr_dispatch_id 0
		.amdhsa_user_sgpr_flat_scratch_init 0
		.amdhsa_user_sgpr_kernarg_preload_length 0
		.amdhsa_user_sgpr_kernarg_preload_offset 0
		.amdhsa_user_sgpr_private_segment_size 0
		.amdhsa_uses_dynamic_stack 0
		.amdhsa_system_sgpr_private_segment_wavefront_offset 0
		.amdhsa_system_sgpr_workgroup_id_x 1
		.amdhsa_system_sgpr_workgroup_id_y 0
		.amdhsa_system_sgpr_workgroup_id_z 0
		.amdhsa_system_sgpr_workgroup_info 0
		.amdhsa_system_vgpr_workitem_id 0
		.amdhsa_next_free_vgpr 12
		.amdhsa_next_free_sgpr 17
		.amdhsa_accum_offset 12
		.amdhsa_reserve_vcc 1
		.amdhsa_reserve_flat_scratch 0
		.amdhsa_float_round_mode_32 0
		.amdhsa_float_round_mode_16_64 0
		.amdhsa_float_denorm_mode_32 3
		.amdhsa_float_denorm_mode_16_64 3
		.amdhsa_dx10_clamp 1
		.amdhsa_ieee_mode 1
		.amdhsa_fp16_overflow 0
		.amdhsa_tg_split 0
		.amdhsa_exception_fp_ieee_invalid_op 0
		.amdhsa_exception_fp_denorm_src 0
		.amdhsa_exception_fp_ieee_div_zero 0
		.amdhsa_exception_fp_ieee_overflow 0
		.amdhsa_exception_fp_ieee_underflow 0
		.amdhsa_exception_fp_ieee_inexact 0
		.amdhsa_exception_int_div_zero 0
	.end_amdhsa_kernel
	.section	.text._Z18warp_reduce_kernelILb0EnLj61ELj100EEvPKT0_PS0_,"axG",@progbits,_Z18warp_reduce_kernelILb0EnLj61ELj100EEvPKT0_PS0_,comdat
.Lfunc_end26:
	.size	_Z18warp_reduce_kernelILb0EnLj61ELj100EEvPKT0_PS0_, .Lfunc_end26-_Z18warp_reduce_kernelILb0EnLj61ELj100EEvPKT0_PS0_
                                        ; -- End function
	.section	.AMDGPU.csdata,"",@progbits
; Kernel info:
; codeLenInByte = 628
; NumSgprs: 21
; NumVgprs: 12
; NumAgprs: 0
; TotalNumVgprs: 12
; ScratchSize: 0
; MemoryBound: 0
; FloatMode: 240
; IeeeMode: 1
; LDSByteSize: 976 bytes/workgroup (compile time only)
; SGPRBlocks: 2
; VGPRBlocks: 1
; NumSGPRsForWavesPerEU: 21
; NumVGPRsForWavesPerEU: 12
; AccumOffset: 12
; Occupancy: 8
; WaveLimiterHint : 0
; COMPUTE_PGM_RSRC2:SCRATCH_EN: 0
; COMPUTE_PGM_RSRC2:USER_SGPR: 6
; COMPUTE_PGM_RSRC2:TRAP_HANDLER: 0
; COMPUTE_PGM_RSRC2:TGID_X_EN: 1
; COMPUTE_PGM_RSRC2:TGID_Y_EN: 0
; COMPUTE_PGM_RSRC2:TGID_Z_EN: 0
; COMPUTE_PGM_RSRC2:TIDIG_COMP_CNT: 0
; COMPUTE_PGM_RSRC3_GFX90A:ACCUM_OFFSET: 2
; COMPUTE_PGM_RSRC3_GFX90A:TG_SPLIT: 0
	.section	.text._Z18warp_reduce_kernelILb0EnLj64ELj100EEvPKT0_PS0_,"axG",@progbits,_Z18warp_reduce_kernelILb0EnLj64ELj100EEvPKT0_PS0_,comdat
	.protected	_Z18warp_reduce_kernelILb0EnLj64ELj100EEvPKT0_PS0_ ; -- Begin function _Z18warp_reduce_kernelILb0EnLj64ELj100EEvPKT0_PS0_
	.globl	_Z18warp_reduce_kernelILb0EnLj64ELj100EEvPKT0_PS0_
	.p2align	8
	.type	_Z18warp_reduce_kernelILb0EnLj64ELj100EEvPKT0_PS0_,@function
_Z18warp_reduce_kernelILb0EnLj64ELj100EEvPKT0_PS0_: ; @_Z18warp_reduce_kernelILb0EnLj64ELj100EEvPKT0_PS0_
; %bb.0:
	s_load_dword s7, s[4:5], 0x1c
	s_load_dwordx4 s[0:3], s[4:5], 0x0
	v_mov_b32_e32 v1, 0
	v_mbcnt_lo_u32_b32 v6, -1, 0
	v_mbcnt_hi_u32_b32 v6, -1, v6
	s_waitcnt lgkmcnt(0)
	s_and_b32 s4, s7, 0xffff
	s_mul_i32 s6, s6, s4
	v_add_u32_e32 v0, s6, v0
	v_lshlrev_b64 v[4:5], 4, v[0:1]
	v_mov_b32_e32 v1, s1
	v_add_co_u32_e32 v0, vcc, s0, v4
	v_addc_co_u32_e32 v1, vcc, v1, v5, vcc
	global_load_dwordx4 v[0:3], v[0:1], off
	v_bfrev_b32_e32 v7, 0.5
	v_lshl_or_b32 v6, v6, 2, v7
	s_movk_i32 s0, 0x64
.LBB27_1:                               ; =>This Inner Loop Header: Depth=1
	s_waitcnt vmcnt(0) lgkmcnt(3)
	v_mov_b32_dpp v7, v0 quad_perm:[1,0,3,2] row_mask:0xf bank_mask:0xf
	v_add_co_u32_e32 v0, vcc, v0, v7
	s_waitcnt lgkmcnt(2)
	v_mov_b32_dpp v8, v1 quad_perm:[1,0,3,2] row_mask:0xf bank_mask:0xf
	v_addc_co_u32_e32 v1, vcc, 0, v1, vcc
	s_waitcnt lgkmcnt(1)
	v_mov_b32_dpp v9, v2 quad_perm:[1,0,3,2] row_mask:0xf bank_mask:0xf
	v_addc_co_u32_e32 v2, vcc, 0, v2, vcc
	;; [unrolled: 3-line block ×3, first 2 shown]
	v_add_co_u32_e32 v7, vcc, 0, v0
	v_addc_co_u32_e32 v1, vcc, v8, v1, vcc
	v_addc_co_u32_e32 v2, vcc, 0, v2, vcc
	v_addc_co_u32_e32 v3, vcc, 0, v3, vcc
	v_add_co_u32_e32 v2, vcc, v2, v9
	v_addc_co_u32_e32 v3, vcc, 0, v3, vcc
	v_add_co_u32_e32 v8, vcc, 0, v2
	v_addc_co_u32_e32 v3, vcc, v3, v10, vcc
	v_mov_b32_dpp v0, v0 quad_perm:[2,3,0,1] row_mask:0xf bank_mask:0xf
	v_add_co_u32_e32 v0, vcc, v7, v0
	v_mov_b32_dpp v9, v1 quad_perm:[2,3,0,1] row_mask:0xf bank_mask:0xf
	v_addc_co_u32_e32 v1, vcc, 0, v1, vcc
	v_addc_co_u32_e32 v7, vcc, 0, v8, vcc
	v_mov_b32_dpp v10, v3 quad_perm:[2,3,0,1] row_mask:0xf bank_mask:0xf
	v_addc_co_u32_e32 v3, vcc, 0, v3, vcc
	v_add_co_u32_e32 v8, vcc, 0, v0
	v_addc_co_u32_e32 v1, vcc, v1, v9, vcc
	v_addc_co_u32_e32 v7, vcc, 0, v7, vcc
	v_mov_b32_dpp v2, v2 quad_perm:[2,3,0,1] row_mask:0xf bank_mask:0xf
	v_addc_co_u32_e32 v3, vcc, 0, v3, vcc
	v_add_co_u32_e32 v2, vcc, v7, v2
	v_addc_co_u32_e32 v3, vcc, 0, v3, vcc
	v_add_co_u32_e32 v7, vcc, 0, v2
	v_addc_co_u32_e32 v3, vcc, v3, v10, vcc
	v_mov_b32_dpp v0, v0 row_ror:4 row_mask:0xf bank_mask:0xf
	v_add_co_u32_e32 v0, vcc, v8, v0
	v_mov_b32_dpp v9, v1 row_ror:4 row_mask:0xf bank_mask:0xf
	v_addc_co_u32_e32 v1, vcc, 0, v1, vcc
	v_addc_co_u32_e32 v7, vcc, 0, v7, vcc
	v_mov_b32_dpp v10, v3 row_ror:4 row_mask:0xf bank_mask:0xf
	v_addc_co_u32_e32 v3, vcc, 0, v3, vcc
	v_add_co_u32_e32 v8, vcc, 0, v0
	v_addc_co_u32_e32 v1, vcc, v1, v9, vcc
	v_addc_co_u32_e32 v7, vcc, 0, v7, vcc
	v_mov_b32_dpp v2, v2 row_ror:4 row_mask:0xf bank_mask:0xf
	v_addc_co_u32_e32 v3, vcc, 0, v3, vcc
	v_add_co_u32_e32 v2, vcc, v7, v2
	v_addc_co_u32_e32 v3, vcc, 0, v3, vcc
	v_add_co_u32_e32 v7, vcc, 0, v2
	v_addc_co_u32_e32 v3, vcc, v3, v10, vcc
	v_mov_b32_dpp v0, v0 row_ror:8 row_mask:0xf bank_mask:0xf
	v_add_co_u32_e32 v0, vcc, v8, v0
	v_mov_b32_dpp v9, v1 row_ror:8 row_mask:0xf bank_mask:0xf
	v_addc_co_u32_e32 v1, vcc, 0, v1, vcc
	v_addc_co_u32_e32 v7, vcc, 0, v7, vcc
	v_mov_b32_dpp v10, v3 row_ror:8 row_mask:0xf bank_mask:0xf
	v_addc_co_u32_e32 v3, vcc, 0, v3, vcc
	v_add_co_u32_e32 v8, vcc, 0, v0
	v_addc_co_u32_e32 v1, vcc, v1, v9, vcc
	v_addc_co_u32_e32 v7, vcc, 0, v7, vcc
	v_mov_b32_dpp v2, v2 row_ror:8 row_mask:0xf bank_mask:0xf
	v_addc_co_u32_e32 v3, vcc, 0, v3, vcc
	v_add_co_u32_e32 v2, vcc, v7, v2
	v_addc_co_u32_e32 v3, vcc, 0, v3, vcc
	v_add_co_u32_e32 v7, vcc, 0, v2
	v_addc_co_u32_e32 v3, vcc, v3, v10, vcc
	v_mov_b32_dpp v0, v0 row_bcast:15 row_mask:0xf bank_mask:0xf
	v_mov_b32_dpp v9, v1 row_bcast:15 row_mask:0xf bank_mask:0xf
	v_add_co_u32_e32 v0, vcc, v0, v8
	v_addc_co_u32_e32 v1, vcc, v9, v1, vcc
	v_addc_co_u32_e32 v7, vcc, 0, v7, vcc
	v_mov_b32_dpp v2, v2 row_bcast:15 row_mask:0xf bank_mask:0xf
	v_mov_b32_dpp v10, v3 row_bcast:15 row_mask:0xf bank_mask:0xf
	v_addc_co_u32_e32 v3, vcc, 0, v3, vcc
	v_add_co_u32_e32 v2, vcc, v7, v2
	v_addc_co_u32_e32 v3, vcc, 0, v3, vcc
	v_add_co_u32_e32 v7, vcc, 0, v2
	v_addc_co_u32_e32 v3, vcc, v3, v10, vcc
	v_mov_b32_dpp v8, v0 row_bcast:31 row_mask:0xf bank_mask:0xf
	v_mov_b32_dpp v9, v1 row_bcast:31 row_mask:0xf bank_mask:0xf
	v_add_co_u32_e32 v0, vcc, v8, v0
	v_addc_co_u32_e32 v1, vcc, v9, v1, vcc
	v_addc_co_u32_e32 v7, vcc, 0, v7, vcc
	v_mov_b32_dpp v2, v2 row_bcast:31 row_mask:0xf bank_mask:0xf
	v_mov_b32_dpp v10, v3 row_bcast:31 row_mask:0xf bank_mask:0xf
	v_addc_co_u32_e32 v3, vcc, 0, v3, vcc
	v_add_co_u32_e32 v2, vcc, v7, v2
	v_addc_co_u32_e32 v3, vcc, 0, v3, vcc
	v_add_u32_e32 v3, v10, v3
	ds_bpermute_b32 v0, v6, v0
	ds_bpermute_b32 v1, v6, v1
	;; [unrolled: 1-line block ×4, first 2 shown]
	s_add_i32 s0, s0, -1
	s_cmp_eq_u32 s0, 0
	s_cbranch_scc0 .LBB27_1
; %bb.2:
	v_mov_b32_e32 v6, s3
	v_add_co_u32_e32 v4, vcc, s2, v4
	v_addc_co_u32_e32 v5, vcc, v6, v5, vcc
	s_waitcnt lgkmcnt(0)
	global_store_dwordx4 v[4:5], v[0:3], off
	s_endpgm
	.section	.rodata,"a",@progbits
	.p2align	6, 0x0
	.amdhsa_kernel _Z18warp_reduce_kernelILb0EnLj64ELj100EEvPKT0_PS0_
		.amdhsa_group_segment_fixed_size 0
		.amdhsa_private_segment_fixed_size 0
		.amdhsa_kernarg_size 272
		.amdhsa_user_sgpr_count 6
		.amdhsa_user_sgpr_private_segment_buffer 1
		.amdhsa_user_sgpr_dispatch_ptr 0
		.amdhsa_user_sgpr_queue_ptr 0
		.amdhsa_user_sgpr_kernarg_segment_ptr 1
		.amdhsa_user_sgpr_dispatch_id 0
		.amdhsa_user_sgpr_flat_scratch_init 0
		.amdhsa_user_sgpr_kernarg_preload_length 0
		.amdhsa_user_sgpr_kernarg_preload_offset 0
		.amdhsa_user_sgpr_private_segment_size 0
		.amdhsa_uses_dynamic_stack 0
		.amdhsa_system_sgpr_private_segment_wavefront_offset 0
		.amdhsa_system_sgpr_workgroup_id_x 1
		.amdhsa_system_sgpr_workgroup_id_y 0
		.amdhsa_system_sgpr_workgroup_id_z 0
		.amdhsa_system_sgpr_workgroup_info 0
		.amdhsa_system_vgpr_workitem_id 0
		.amdhsa_next_free_vgpr 11
		.amdhsa_next_free_sgpr 8
		.amdhsa_accum_offset 12
		.amdhsa_reserve_vcc 1
		.amdhsa_reserve_flat_scratch 0
		.amdhsa_float_round_mode_32 0
		.amdhsa_float_round_mode_16_64 0
		.amdhsa_float_denorm_mode_32 3
		.amdhsa_float_denorm_mode_16_64 3
		.amdhsa_dx10_clamp 1
		.amdhsa_ieee_mode 1
		.amdhsa_fp16_overflow 0
		.amdhsa_tg_split 0
		.amdhsa_exception_fp_ieee_invalid_op 0
		.amdhsa_exception_fp_denorm_src 0
		.amdhsa_exception_fp_ieee_div_zero 0
		.amdhsa_exception_fp_ieee_overflow 0
		.amdhsa_exception_fp_ieee_underflow 0
		.amdhsa_exception_fp_ieee_inexact 0
		.amdhsa_exception_int_div_zero 0
	.end_amdhsa_kernel
	.section	.text._Z18warp_reduce_kernelILb0EnLj64ELj100EEvPKT0_PS0_,"axG",@progbits,_Z18warp_reduce_kernelILb0EnLj64ELj100EEvPKT0_PS0_,comdat
.Lfunc_end27:
	.size	_Z18warp_reduce_kernelILb0EnLj64ELj100EEvPKT0_PS0_, .Lfunc_end27-_Z18warp_reduce_kernelILb0EnLj64ELj100EEvPKT0_PS0_
                                        ; -- End function
	.section	.AMDGPU.csdata,"",@progbits
; Kernel info:
; codeLenInByte = 632
; NumSgprs: 12
; NumVgprs: 11
; NumAgprs: 0
; TotalNumVgprs: 11
; ScratchSize: 0
; MemoryBound: 0
; FloatMode: 240
; IeeeMode: 1
; LDSByteSize: 0 bytes/workgroup (compile time only)
; SGPRBlocks: 1
; VGPRBlocks: 1
; NumSGPRsForWavesPerEU: 12
; NumVGPRsForWavesPerEU: 11
; AccumOffset: 12
; Occupancy: 8
; WaveLimiterHint : 0
; COMPUTE_PGM_RSRC2:SCRATCH_EN: 0
; COMPUTE_PGM_RSRC2:USER_SGPR: 6
; COMPUTE_PGM_RSRC2:TRAP_HANDLER: 0
; COMPUTE_PGM_RSRC2:TGID_X_EN: 1
; COMPUTE_PGM_RSRC2:TGID_Y_EN: 0
; COMPUTE_PGM_RSRC2:TGID_Z_EN: 0
; COMPUTE_PGM_RSRC2:TIDIG_COMP_CNT: 0
; COMPUTE_PGM_RSRC3_GFX90A:ACCUM_OFFSET: 2
; COMPUTE_PGM_RSRC3_GFX90A:TG_SPLIT: 0
	.section	.text._Z18warp_reduce_kernelILb0EoLj32ELj100EEvPKT0_PS0_,"axG",@progbits,_Z18warp_reduce_kernelILb0EoLj32ELj100EEvPKT0_PS0_,comdat
	.protected	_Z18warp_reduce_kernelILb0EoLj32ELj100EEvPKT0_PS0_ ; -- Begin function _Z18warp_reduce_kernelILb0EoLj32ELj100EEvPKT0_PS0_
	.globl	_Z18warp_reduce_kernelILb0EoLj32ELj100EEvPKT0_PS0_
	.p2align	8
	.type	_Z18warp_reduce_kernelILb0EoLj32ELj100EEvPKT0_PS0_,@function
_Z18warp_reduce_kernelILb0EoLj32ELj100EEvPKT0_PS0_: ; @_Z18warp_reduce_kernelILb0EoLj32ELj100EEvPKT0_PS0_
; %bb.0:
	s_load_dword s7, s[4:5], 0x1c
	s_load_dwordx4 s[0:3], s[4:5], 0x0
	v_mov_b32_e32 v1, 0
	v_mbcnt_lo_u32_b32 v6, -1, 0
	v_mbcnt_hi_u32_b32 v10, -1, v6
	s_waitcnt lgkmcnt(0)
	s_and_b32 s4, s7, 0xffff
	s_mul_i32 s6, s6, s4
	v_add_u32_e32 v0, s6, v0
	v_lshlrev_b64 v[4:5], 4, v[0:1]
	v_mov_b32_e32 v1, s1
	v_add_co_u32_e32 v0, vcc, s0, v4
	v_addc_co_u32_e32 v1, vcc, v1, v5, vcc
	global_load_dwordx4 v[0:3], v[0:1], off
	v_and_b32_e32 v11, 31, v10
	v_cmp_ne_u32_e32 vcc, 31, v11
	v_addc_co_u32_e32 v6, vcc, 0, v10, vcc
	v_cmp_gt_u32_e32 vcc, 30, v11
	v_cndmask_b32_e64 v7, 0, 1, vcc
	v_cmp_gt_u32_e32 vcc, 28, v11
	v_cndmask_b32_e64 v8, 0, 1, vcc
	;; [unrolled: 2-line block ×4, first 2 shown]
	v_lshlrev_b32_e32 v7, 1, v7
	v_lshlrev_b32_e32 v8, 2, v8
	;; [unrolled: 1-line block ×5, first 2 shown]
	v_add_lshl_u32 v7, v7, v10, 2
	v_add_lshl_u32 v8, v8, v10, 2
	;; [unrolled: 1-line block ×4, first 2 shown]
	s_movk_i32 s0, 0x64
.LBB28_1:                               ; =>This Inner Loop Header: Depth=1
	s_waitcnt vmcnt(0)
	ds_bpermute_b32 v11, v6, v0
	ds_bpermute_b32 v12, v6, v1
	;; [unrolled: 1-line block ×4, first 2 shown]
	s_add_i32 s0, s0, -1
	s_waitcnt lgkmcnt(3)
	v_add_co_u32_e32 v0, vcc, v0, v11
	v_addc_co_u32_e32 v1, vcc, 0, v1, vcc
	v_addc_co_u32_e32 v2, vcc, 0, v2, vcc
	;; [unrolled: 1-line block ×3, first 2 shown]
	v_add_co_u32_e32 v11, vcc, 0, v0
	s_waitcnt lgkmcnt(2)
	v_addc_co_u32_e32 v1, vcc, v12, v1, vcc
	v_addc_co_u32_e32 v2, vcc, 0, v2, vcc
	v_addc_co_u32_e32 v3, vcc, 0, v3, vcc
	ds_bpermute_b32 v0, v7, v0
	s_waitcnt lgkmcnt(2)
	v_add_co_u32_e32 v2, vcc, v2, v13
	v_addc_co_u32_e32 v3, vcc, 0, v3, vcc
	v_add_co_u32_e32 v12, vcc, 0, v2
	s_waitcnt lgkmcnt(1)
	v_addc_co_u32_e32 v3, vcc, v3, v14, vcc
	ds_bpermute_b32 v13, v7, v1
	s_waitcnt lgkmcnt(1)
	v_add_co_u32_e32 v0, vcc, v11, v0
	v_addc_co_u32_e32 v1, vcc, 0, v1, vcc
	v_addc_co_u32_e32 v11, vcc, 0, v12, vcc
	ds_bpermute_b32 v2, v7, v2
	ds_bpermute_b32 v14, v7, v3
	v_addc_co_u32_e32 v3, vcc, 0, v3, vcc
	v_add_co_u32_e32 v12, vcc, 0, v0
	s_waitcnt lgkmcnt(2)
	v_addc_co_u32_e32 v1, vcc, v1, v13, vcc
	v_addc_co_u32_e32 v11, vcc, 0, v11, vcc
	v_addc_co_u32_e32 v3, vcc, 0, v3, vcc
	ds_bpermute_b32 v0, v8, v0
	s_waitcnt lgkmcnt(2)
	v_add_co_u32_e32 v2, vcc, v11, v2
	v_addc_co_u32_e32 v3, vcc, 0, v3, vcc
	v_add_co_u32_e32 v11, vcc, 0, v2
	s_waitcnt lgkmcnt(1)
	v_addc_co_u32_e32 v3, vcc, v3, v14, vcc
	ds_bpermute_b32 v13, v8, v1
	s_waitcnt lgkmcnt(1)
	v_add_co_u32_e32 v0, vcc, v12, v0
	v_addc_co_u32_e32 v1, vcc, 0, v1, vcc
	v_addc_co_u32_e32 v11, vcc, 0, v11, vcc
	ds_bpermute_b32 v2, v8, v2
	ds_bpermute_b32 v14, v8, v3
	v_addc_co_u32_e32 v3, vcc, 0, v3, vcc
	;; [unrolled: 20-line block ×4, first 2 shown]
	v_add_co_u32_e32 v0, vcc, 0, v0
	s_waitcnt lgkmcnt(2)
	v_addc_co_u32_e32 v1, vcc, v1, v13, vcc
	v_addc_co_u32_e32 v11, vcc, 0, v11, vcc
	v_addc_co_u32_e32 v3, vcc, 0, v3, vcc
	s_waitcnt lgkmcnt(1)
	v_add_co_u32_e32 v2, vcc, v11, v2
	v_addc_co_u32_e32 v3, vcc, 0, v3, vcc
	v_add_co_u32_e32 v2, vcc, 0, v2
	s_cmp_eq_u32 s0, 0
	s_waitcnt lgkmcnt(0)
	v_addc_co_u32_e32 v3, vcc, v3, v14, vcc
	s_cbranch_scc0 .LBB28_1
; %bb.2:
	v_mov_b32_e32 v6, s3
	v_add_co_u32_e32 v4, vcc, s2, v4
	v_addc_co_u32_e32 v5, vcc, v6, v5, vcc
	global_store_dwordx4 v[4:5], v[0:3], off
	s_endpgm
	.section	.rodata,"a",@progbits
	.p2align	6, 0x0
	.amdhsa_kernel _Z18warp_reduce_kernelILb0EoLj32ELj100EEvPKT0_PS0_
		.amdhsa_group_segment_fixed_size 0
		.amdhsa_private_segment_fixed_size 0
		.amdhsa_kernarg_size 272
		.amdhsa_user_sgpr_count 6
		.amdhsa_user_sgpr_private_segment_buffer 1
		.amdhsa_user_sgpr_dispatch_ptr 0
		.amdhsa_user_sgpr_queue_ptr 0
		.amdhsa_user_sgpr_kernarg_segment_ptr 1
		.amdhsa_user_sgpr_dispatch_id 0
		.amdhsa_user_sgpr_flat_scratch_init 0
		.amdhsa_user_sgpr_kernarg_preload_length 0
		.amdhsa_user_sgpr_kernarg_preload_offset 0
		.amdhsa_user_sgpr_private_segment_size 0
		.amdhsa_uses_dynamic_stack 0
		.amdhsa_system_sgpr_private_segment_wavefront_offset 0
		.amdhsa_system_sgpr_workgroup_id_x 1
		.amdhsa_system_sgpr_workgroup_id_y 0
		.amdhsa_system_sgpr_workgroup_id_z 0
		.amdhsa_system_sgpr_workgroup_info 0
		.amdhsa_system_vgpr_workitem_id 0
		.amdhsa_next_free_vgpr 15
		.amdhsa_next_free_sgpr 8
		.amdhsa_accum_offset 16
		.amdhsa_reserve_vcc 1
		.amdhsa_reserve_flat_scratch 0
		.amdhsa_float_round_mode_32 0
		.amdhsa_float_round_mode_16_64 0
		.amdhsa_float_denorm_mode_32 3
		.amdhsa_float_denorm_mode_16_64 3
		.amdhsa_dx10_clamp 1
		.amdhsa_ieee_mode 1
		.amdhsa_fp16_overflow 0
		.amdhsa_tg_split 0
		.amdhsa_exception_fp_ieee_invalid_op 0
		.amdhsa_exception_fp_denorm_src 0
		.amdhsa_exception_fp_ieee_div_zero 0
		.amdhsa_exception_fp_ieee_overflow 0
		.amdhsa_exception_fp_ieee_underflow 0
		.amdhsa_exception_fp_ieee_inexact 0
		.amdhsa_exception_int_div_zero 0
	.end_amdhsa_kernel
	.section	.text._Z18warp_reduce_kernelILb0EoLj32ELj100EEvPKT0_PS0_,"axG",@progbits,_Z18warp_reduce_kernelILb0EoLj32ELj100EEvPKT0_PS0_,comdat
.Lfunc_end28:
	.size	_Z18warp_reduce_kernelILb0EoLj32ELj100EEvPKT0_PS0_, .Lfunc_end28-_Z18warp_reduce_kernelILb0EoLj32ELj100EEvPKT0_PS0_
                                        ; -- End function
	.section	.AMDGPU.csdata,"",@progbits
; Kernel info:
; codeLenInByte = 720
; NumSgprs: 12
; NumVgprs: 15
; NumAgprs: 0
; TotalNumVgprs: 15
; ScratchSize: 0
; MemoryBound: 0
; FloatMode: 240
; IeeeMode: 1
; LDSByteSize: 0 bytes/workgroup (compile time only)
; SGPRBlocks: 1
; VGPRBlocks: 1
; NumSGPRsForWavesPerEU: 12
; NumVGPRsForWavesPerEU: 15
; AccumOffset: 16
; Occupancy: 8
; WaveLimiterHint : 0
; COMPUTE_PGM_RSRC2:SCRATCH_EN: 0
; COMPUTE_PGM_RSRC2:USER_SGPR: 6
; COMPUTE_PGM_RSRC2:TRAP_HANDLER: 0
; COMPUTE_PGM_RSRC2:TGID_X_EN: 1
; COMPUTE_PGM_RSRC2:TGID_Y_EN: 0
; COMPUTE_PGM_RSRC2:TGID_Z_EN: 0
; COMPUTE_PGM_RSRC2:TIDIG_COMP_CNT: 0
; COMPUTE_PGM_RSRC3_GFX90A:ACCUM_OFFSET: 3
; COMPUTE_PGM_RSRC3_GFX90A:TG_SPLIT: 0
	.section	.text._Z18warp_reduce_kernelILb0EoLj37ELj100EEvPKT0_PS0_,"axG",@progbits,_Z18warp_reduce_kernelILb0EoLj37ELj100EEvPKT0_PS0_,comdat
	.protected	_Z18warp_reduce_kernelILb0EoLj37ELj100EEvPKT0_PS0_ ; -- Begin function _Z18warp_reduce_kernelILb0EoLj37ELj100EEvPKT0_PS0_
	.globl	_Z18warp_reduce_kernelILb0EoLj37ELj100EEvPKT0_PS0_
	.p2align	8
	.type	_Z18warp_reduce_kernelILb0EoLj37ELj100EEvPKT0_PS0_,@function
_Z18warp_reduce_kernelILb0EoLj37ELj100EEvPKT0_PS0_: ; @_Z18warp_reduce_kernelILb0EoLj37ELj100EEvPKT0_PS0_
; %bb.0:
	s_load_dword s0, s[4:5], 0x1c
	s_load_dwordx4 s[12:15], s[4:5], 0x0
	v_mov_b32_e32 v5, 0
	s_movk_i32 s16, 0x64
	s_waitcnt lgkmcnt(0)
	s_and_b32 s0, s0, 0xffff
	s_mul_i32 s6, s6, s0
	v_add_u32_e32 v4, s6, v0
	v_lshlrev_b64 v[6:7], 4, v[4:5]
	v_mov_b32_e32 v1, s13
	v_add_co_u32_e32 v0, vcc, s12, v6
	v_addc_co_u32_e32 v1, vcc, v1, v7, vcc
	global_load_dwordx4 v[0:3], v[0:1], off
	v_mbcnt_lo_u32_b32 v4, -1, 0
	v_mbcnt_hi_u32_b32 v4, -1, v4
	s_mov_b32 s0, 0x6eb3e46
	v_mul_hi_u32 v8, v4, s0
	v_mul_u32_u24_e32 v8, 37, v8
	v_sub_u32_e32 v8, v4, v8
	v_lshlrev_b32_e32 v4, 4, v8
	v_cmp_gt_u32_e64 s[0:1], 5, v8
	v_cmp_gt_u32_e64 s[2:3], 16, v8
	;; [unrolled: 1-line block ×5, first 2 shown]
	v_cmp_eq_u32_e64 s[10:11], 0, v8
	s_branch .LBB29_2
.LBB29_1:                               ;   in Loop: Header=BB29_2 Depth=1
	s_or_b64 exec, exec, s[12:13]
	s_add_i32 s16, s16, -1
	s_cmp_eq_u32 s16, 0
	; wave barrier
	s_cbranch_scc1 .LBB29_26
.LBB29_2:                               ; =>This Inner Loop Header: Depth=1
	s_waitcnt vmcnt(0)
	ds_write_b128 v4, v[0:3]
	; wave barrier
	s_and_saveexec_b64 s[12:13], s[0:1]
	s_cbranch_execz .LBB29_4
; %bb.3:                                ;   in Loop: Header=BB29_2 Depth=1
	ds_read_b128 v[0:3], v4
	ds_read_b128 v[8:11], v4 offset:512
	s_waitcnt lgkmcnt(0)
	v_add_co_u32_e32 v0, vcc, v8, v0
	v_addc_co_u32_e32 v1, vcc, v9, v1, vcc
	v_addc_co_u32_e32 v2, vcc, v10, v2, vcc
	;; [unrolled: 1-line block ×3, first 2 shown]
.LBB29_4:                               ;   in Loop: Header=BB29_2 Depth=1
	s_or_b64 exec, exec, s[12:13]
	; wave barrier
	s_and_saveexec_b64 s[12:13], s[0:1]
	s_cbranch_execz .LBB29_6
; %bb.5:                                ;   in Loop: Header=BB29_2 Depth=1
	ds_write_b128 v4, v[0:3]
.LBB29_6:                               ;   in Loop: Header=BB29_2 Depth=1
	s_or_b64 exec, exec, s[12:13]
	; wave barrier
	s_and_saveexec_b64 s[12:13], s[2:3]
	s_cbranch_execz .LBB29_8
; %bb.7:                                ;   in Loop: Header=BB29_2 Depth=1
	ds_read_b128 v[0:3], v4
	ds_read_b128 v[8:11], v4 offset:256
	s_waitcnt lgkmcnt(0)
	v_add_co_u32_e32 v0, vcc, v8, v0
	v_addc_co_u32_e32 v1, vcc, v9, v1, vcc
	v_addc_co_u32_e32 v2, vcc, v10, v2, vcc
	;; [unrolled: 1-line block ×3, first 2 shown]
.LBB29_8:                               ;   in Loop: Header=BB29_2 Depth=1
	s_or_b64 exec, exec, s[12:13]
	; wave barrier
	s_and_saveexec_b64 s[12:13], s[2:3]
	s_cbranch_execz .LBB29_10
; %bb.9:                                ;   in Loop: Header=BB29_2 Depth=1
	ds_write_b128 v4, v[0:3]
.LBB29_10:                              ;   in Loop: Header=BB29_2 Depth=1
	s_or_b64 exec, exec, s[12:13]
	; wave barrier
	s_and_saveexec_b64 s[12:13], s[4:5]
	s_cbranch_execz .LBB29_12
; %bb.11:                               ;   in Loop: Header=BB29_2 Depth=1
	ds_read_b128 v[0:3], v4
	ds_read_b128 v[8:11], v4 offset:128
	s_waitcnt lgkmcnt(0)
	v_add_co_u32_e32 v0, vcc, v8, v0
	v_addc_co_u32_e32 v1, vcc, v9, v1, vcc
	v_addc_co_u32_e32 v2, vcc, v10, v2, vcc
	v_addc_co_u32_e32 v3, vcc, v11, v3, vcc
.LBB29_12:                              ;   in Loop: Header=BB29_2 Depth=1
	s_or_b64 exec, exec, s[12:13]
	; wave barrier
	s_and_saveexec_b64 s[12:13], s[4:5]
	s_cbranch_execz .LBB29_14
; %bb.13:                               ;   in Loop: Header=BB29_2 Depth=1
	ds_write_b128 v4, v[0:3]
.LBB29_14:                              ;   in Loop: Header=BB29_2 Depth=1
	s_or_b64 exec, exec, s[12:13]
	; wave barrier
	s_and_saveexec_b64 s[12:13], s[6:7]
	s_cbranch_execz .LBB29_16
; %bb.15:                               ;   in Loop: Header=BB29_2 Depth=1
	ds_read_b128 v[0:3], v4
	ds_read_b128 v[8:11], v4 offset:64
	s_waitcnt lgkmcnt(0)
	v_add_co_u32_e32 v0, vcc, v8, v0
	v_addc_co_u32_e32 v1, vcc, v9, v1, vcc
	v_addc_co_u32_e32 v2, vcc, v10, v2, vcc
	v_addc_co_u32_e32 v3, vcc, v11, v3, vcc
.LBB29_16:                              ;   in Loop: Header=BB29_2 Depth=1
	s_or_b64 exec, exec, s[12:13]
	; wave barrier
	s_and_saveexec_b64 s[12:13], s[6:7]
	s_cbranch_execz .LBB29_18
; %bb.17:                               ;   in Loop: Header=BB29_2 Depth=1
	ds_write_b128 v4, v[0:3]
.LBB29_18:                              ;   in Loop: Header=BB29_2 Depth=1
	s_or_b64 exec, exec, s[12:13]
	; wave barrier
	s_and_saveexec_b64 s[12:13], s[8:9]
	s_cbranch_execz .LBB29_20
; %bb.19:                               ;   in Loop: Header=BB29_2 Depth=1
	ds_read_b128 v[0:3], v4
	ds_read_b128 v[8:11], v4 offset:32
	s_waitcnt lgkmcnt(0)
	v_add_co_u32_e32 v0, vcc, v8, v0
	v_addc_co_u32_e32 v1, vcc, v9, v1, vcc
	v_addc_co_u32_e32 v2, vcc, v10, v2, vcc
	v_addc_co_u32_e32 v3, vcc, v11, v3, vcc
.LBB29_20:                              ;   in Loop: Header=BB29_2 Depth=1
	s_or_b64 exec, exec, s[12:13]
	; wave barrier
	s_and_saveexec_b64 s[12:13], s[8:9]
	s_cbranch_execz .LBB29_22
; %bb.21:                               ;   in Loop: Header=BB29_2 Depth=1
	ds_write_b128 v4, v[0:3]
.LBB29_22:                              ;   in Loop: Header=BB29_2 Depth=1
	s_or_b64 exec, exec, s[12:13]
	; wave barrier
	s_and_saveexec_b64 s[12:13], s[10:11]
	s_cbranch_execz .LBB29_24
; %bb.23:                               ;   in Loop: Header=BB29_2 Depth=1
	ds_read_b128 v[0:3], v4
	ds_read_b128 v[8:11], v5 offset:16
	s_waitcnt lgkmcnt(0)
	v_add_co_u32_e32 v0, vcc, v8, v0
	v_addc_co_u32_e32 v1, vcc, v9, v1, vcc
	v_addc_co_u32_e32 v2, vcc, v10, v2, vcc
	;; [unrolled: 1-line block ×3, first 2 shown]
.LBB29_24:                              ;   in Loop: Header=BB29_2 Depth=1
	s_or_b64 exec, exec, s[12:13]
	; wave barrier
	s_and_saveexec_b64 s[12:13], s[10:11]
	s_cbranch_execz .LBB29_1
; %bb.25:                               ;   in Loop: Header=BB29_2 Depth=1
	ds_write_b128 v4, v[0:3]
	s_branch .LBB29_1
.LBB29_26:
	v_mov_b32_e32 v5, s15
	v_add_co_u32_e32 v4, vcc, s14, v6
	v_addc_co_u32_e32 v5, vcc, v5, v7, vcc
	global_store_dwordx4 v[4:5], v[0:3], off
	s_endpgm
	.section	.rodata,"a",@progbits
	.p2align	6, 0x0
	.amdhsa_kernel _Z18warp_reduce_kernelILb0EoLj37ELj100EEvPKT0_PS0_
		.amdhsa_group_segment_fixed_size 592
		.amdhsa_private_segment_fixed_size 0
		.amdhsa_kernarg_size 272
		.amdhsa_user_sgpr_count 6
		.amdhsa_user_sgpr_private_segment_buffer 1
		.amdhsa_user_sgpr_dispatch_ptr 0
		.amdhsa_user_sgpr_queue_ptr 0
		.amdhsa_user_sgpr_kernarg_segment_ptr 1
		.amdhsa_user_sgpr_dispatch_id 0
		.amdhsa_user_sgpr_flat_scratch_init 0
		.amdhsa_user_sgpr_kernarg_preload_length 0
		.amdhsa_user_sgpr_kernarg_preload_offset 0
		.amdhsa_user_sgpr_private_segment_size 0
		.amdhsa_uses_dynamic_stack 0
		.amdhsa_system_sgpr_private_segment_wavefront_offset 0
		.amdhsa_system_sgpr_workgroup_id_x 1
		.amdhsa_system_sgpr_workgroup_id_y 0
		.amdhsa_system_sgpr_workgroup_id_z 0
		.amdhsa_system_sgpr_workgroup_info 0
		.amdhsa_system_vgpr_workitem_id 0
		.amdhsa_next_free_vgpr 12
		.amdhsa_next_free_sgpr 17
		.amdhsa_accum_offset 12
		.amdhsa_reserve_vcc 1
		.amdhsa_reserve_flat_scratch 0
		.amdhsa_float_round_mode_32 0
		.amdhsa_float_round_mode_16_64 0
		.amdhsa_float_denorm_mode_32 3
		.amdhsa_float_denorm_mode_16_64 3
		.amdhsa_dx10_clamp 1
		.amdhsa_ieee_mode 1
		.amdhsa_fp16_overflow 0
		.amdhsa_tg_split 0
		.amdhsa_exception_fp_ieee_invalid_op 0
		.amdhsa_exception_fp_denorm_src 0
		.amdhsa_exception_fp_ieee_div_zero 0
		.amdhsa_exception_fp_ieee_overflow 0
		.amdhsa_exception_fp_ieee_underflow 0
		.amdhsa_exception_fp_ieee_inexact 0
		.amdhsa_exception_int_div_zero 0
	.end_amdhsa_kernel
	.section	.text._Z18warp_reduce_kernelILb0EoLj37ELj100EEvPKT0_PS0_,"axG",@progbits,_Z18warp_reduce_kernelILb0EoLj37ELj100EEvPKT0_PS0_,comdat
.Lfunc_end29:
	.size	_Z18warp_reduce_kernelILb0EoLj37ELj100EEvPKT0_PS0_, .Lfunc_end29-_Z18warp_reduce_kernelILb0EoLj37ELj100EEvPKT0_PS0_
                                        ; -- End function
	.section	.AMDGPU.csdata,"",@progbits
; Kernel info:
; codeLenInByte = 628
; NumSgprs: 21
; NumVgprs: 12
; NumAgprs: 0
; TotalNumVgprs: 12
; ScratchSize: 0
; MemoryBound: 0
; FloatMode: 240
; IeeeMode: 1
; LDSByteSize: 592 bytes/workgroup (compile time only)
; SGPRBlocks: 2
; VGPRBlocks: 1
; NumSGPRsForWavesPerEU: 21
; NumVGPRsForWavesPerEU: 12
; AccumOffset: 12
; Occupancy: 8
; WaveLimiterHint : 0
; COMPUTE_PGM_RSRC2:SCRATCH_EN: 0
; COMPUTE_PGM_RSRC2:USER_SGPR: 6
; COMPUTE_PGM_RSRC2:TRAP_HANDLER: 0
; COMPUTE_PGM_RSRC2:TGID_X_EN: 1
; COMPUTE_PGM_RSRC2:TGID_Y_EN: 0
; COMPUTE_PGM_RSRC2:TGID_Z_EN: 0
; COMPUTE_PGM_RSRC2:TIDIG_COMP_CNT: 0
; COMPUTE_PGM_RSRC3_GFX90A:ACCUM_OFFSET: 2
; COMPUTE_PGM_RSRC3_GFX90A:TG_SPLIT: 0
	.section	.text._Z18warp_reduce_kernelILb0EoLj61ELj100EEvPKT0_PS0_,"axG",@progbits,_Z18warp_reduce_kernelILb0EoLj61ELj100EEvPKT0_PS0_,comdat
	.protected	_Z18warp_reduce_kernelILb0EoLj61ELj100EEvPKT0_PS0_ ; -- Begin function _Z18warp_reduce_kernelILb0EoLj61ELj100EEvPKT0_PS0_
	.globl	_Z18warp_reduce_kernelILb0EoLj61ELj100EEvPKT0_PS0_
	.p2align	8
	.type	_Z18warp_reduce_kernelILb0EoLj61ELj100EEvPKT0_PS0_,@function
_Z18warp_reduce_kernelILb0EoLj61ELj100EEvPKT0_PS0_: ; @_Z18warp_reduce_kernelILb0EoLj61ELj100EEvPKT0_PS0_
; %bb.0:
	s_load_dword s0, s[4:5], 0x1c
	s_load_dwordx4 s[12:15], s[4:5], 0x0
	v_mov_b32_e32 v5, 0
	s_movk_i32 s16, 0x64
	s_waitcnt lgkmcnt(0)
	s_and_b32 s0, s0, 0xffff
	s_mul_i32 s6, s6, s0
	v_add_u32_e32 v4, s6, v0
	v_lshlrev_b64 v[6:7], 4, v[4:5]
	v_mov_b32_e32 v1, s13
	v_add_co_u32_e32 v0, vcc, s12, v6
	v_addc_co_u32_e32 v1, vcc, v1, v7, vcc
	global_load_dwordx4 v[0:3], v[0:1], off
	v_mbcnt_lo_u32_b32 v4, -1, 0
	v_mbcnt_hi_u32_b32 v4, -1, v4
	s_mov_b32 s0, 0x4325c54
	v_mul_hi_u32 v8, v4, s0
	v_mul_u32_u24_e32 v8, 61, v8
	v_sub_u32_e32 v8, v4, v8
	v_lshlrev_b32_e32 v4, 4, v8
	v_cmp_gt_u32_e64 s[0:1], 29, v8
	v_cmp_gt_u32_e64 s[2:3], 16, v8
	;; [unrolled: 1-line block ×5, first 2 shown]
	v_cmp_eq_u32_e64 s[10:11], 0, v8
	s_branch .LBB30_2
.LBB30_1:                               ;   in Loop: Header=BB30_2 Depth=1
	s_or_b64 exec, exec, s[12:13]
	s_add_i32 s16, s16, -1
	s_cmp_eq_u32 s16, 0
	; wave barrier
	s_cbranch_scc1 .LBB30_26
.LBB30_2:                               ; =>This Inner Loop Header: Depth=1
	s_waitcnt vmcnt(0)
	ds_write_b128 v4, v[0:3]
	; wave barrier
	s_and_saveexec_b64 s[12:13], s[0:1]
	s_cbranch_execz .LBB30_4
; %bb.3:                                ;   in Loop: Header=BB30_2 Depth=1
	ds_read_b128 v[0:3], v4
	ds_read_b128 v[8:11], v4 offset:512
	s_waitcnt lgkmcnt(0)
	v_add_co_u32_e32 v0, vcc, v8, v0
	v_addc_co_u32_e32 v1, vcc, v9, v1, vcc
	v_addc_co_u32_e32 v2, vcc, v10, v2, vcc
	;; [unrolled: 1-line block ×3, first 2 shown]
.LBB30_4:                               ;   in Loop: Header=BB30_2 Depth=1
	s_or_b64 exec, exec, s[12:13]
	; wave barrier
	s_and_saveexec_b64 s[12:13], s[0:1]
	s_cbranch_execz .LBB30_6
; %bb.5:                                ;   in Loop: Header=BB30_2 Depth=1
	ds_write_b128 v4, v[0:3]
.LBB30_6:                               ;   in Loop: Header=BB30_2 Depth=1
	s_or_b64 exec, exec, s[12:13]
	; wave barrier
	s_and_saveexec_b64 s[12:13], s[2:3]
	s_cbranch_execz .LBB30_8
; %bb.7:                                ;   in Loop: Header=BB30_2 Depth=1
	ds_read_b128 v[0:3], v4
	ds_read_b128 v[8:11], v4 offset:256
	s_waitcnt lgkmcnt(0)
	v_add_co_u32_e32 v0, vcc, v8, v0
	v_addc_co_u32_e32 v1, vcc, v9, v1, vcc
	v_addc_co_u32_e32 v2, vcc, v10, v2, vcc
	;; [unrolled: 1-line block ×3, first 2 shown]
.LBB30_8:                               ;   in Loop: Header=BB30_2 Depth=1
	s_or_b64 exec, exec, s[12:13]
	; wave barrier
	s_and_saveexec_b64 s[12:13], s[2:3]
	s_cbranch_execz .LBB30_10
; %bb.9:                                ;   in Loop: Header=BB30_2 Depth=1
	ds_write_b128 v4, v[0:3]
.LBB30_10:                              ;   in Loop: Header=BB30_2 Depth=1
	s_or_b64 exec, exec, s[12:13]
	; wave barrier
	s_and_saveexec_b64 s[12:13], s[4:5]
	s_cbranch_execz .LBB30_12
; %bb.11:                               ;   in Loop: Header=BB30_2 Depth=1
	ds_read_b128 v[0:3], v4
	ds_read_b128 v[8:11], v4 offset:128
	s_waitcnt lgkmcnt(0)
	v_add_co_u32_e32 v0, vcc, v8, v0
	v_addc_co_u32_e32 v1, vcc, v9, v1, vcc
	v_addc_co_u32_e32 v2, vcc, v10, v2, vcc
	v_addc_co_u32_e32 v3, vcc, v11, v3, vcc
.LBB30_12:                              ;   in Loop: Header=BB30_2 Depth=1
	s_or_b64 exec, exec, s[12:13]
	; wave barrier
	s_and_saveexec_b64 s[12:13], s[4:5]
	s_cbranch_execz .LBB30_14
; %bb.13:                               ;   in Loop: Header=BB30_2 Depth=1
	ds_write_b128 v4, v[0:3]
.LBB30_14:                              ;   in Loop: Header=BB30_2 Depth=1
	s_or_b64 exec, exec, s[12:13]
	; wave barrier
	s_and_saveexec_b64 s[12:13], s[6:7]
	s_cbranch_execz .LBB30_16
; %bb.15:                               ;   in Loop: Header=BB30_2 Depth=1
	ds_read_b128 v[0:3], v4
	ds_read_b128 v[8:11], v4 offset:64
	s_waitcnt lgkmcnt(0)
	v_add_co_u32_e32 v0, vcc, v8, v0
	v_addc_co_u32_e32 v1, vcc, v9, v1, vcc
	v_addc_co_u32_e32 v2, vcc, v10, v2, vcc
	v_addc_co_u32_e32 v3, vcc, v11, v3, vcc
.LBB30_16:                              ;   in Loop: Header=BB30_2 Depth=1
	s_or_b64 exec, exec, s[12:13]
	; wave barrier
	s_and_saveexec_b64 s[12:13], s[6:7]
	s_cbranch_execz .LBB30_18
; %bb.17:                               ;   in Loop: Header=BB30_2 Depth=1
	ds_write_b128 v4, v[0:3]
.LBB30_18:                              ;   in Loop: Header=BB30_2 Depth=1
	;; [unrolled: 20-line block ×3, first 2 shown]
	s_or_b64 exec, exec, s[12:13]
	; wave barrier
	s_and_saveexec_b64 s[12:13], s[10:11]
	s_cbranch_execz .LBB30_24
; %bb.23:                               ;   in Loop: Header=BB30_2 Depth=1
	ds_read_b128 v[0:3], v4
	ds_read_b128 v[8:11], v5 offset:16
	s_waitcnt lgkmcnt(0)
	v_add_co_u32_e32 v0, vcc, v8, v0
	v_addc_co_u32_e32 v1, vcc, v9, v1, vcc
	v_addc_co_u32_e32 v2, vcc, v10, v2, vcc
	;; [unrolled: 1-line block ×3, first 2 shown]
.LBB30_24:                              ;   in Loop: Header=BB30_2 Depth=1
	s_or_b64 exec, exec, s[12:13]
	; wave barrier
	s_and_saveexec_b64 s[12:13], s[10:11]
	s_cbranch_execz .LBB30_1
; %bb.25:                               ;   in Loop: Header=BB30_2 Depth=1
	ds_write_b128 v4, v[0:3]
	s_branch .LBB30_1
.LBB30_26:
	v_mov_b32_e32 v5, s15
	v_add_co_u32_e32 v4, vcc, s14, v6
	v_addc_co_u32_e32 v5, vcc, v5, v7, vcc
	global_store_dwordx4 v[4:5], v[0:3], off
	s_endpgm
	.section	.rodata,"a",@progbits
	.p2align	6, 0x0
	.amdhsa_kernel _Z18warp_reduce_kernelILb0EoLj61ELj100EEvPKT0_PS0_
		.amdhsa_group_segment_fixed_size 976
		.amdhsa_private_segment_fixed_size 0
		.amdhsa_kernarg_size 272
		.amdhsa_user_sgpr_count 6
		.amdhsa_user_sgpr_private_segment_buffer 1
		.amdhsa_user_sgpr_dispatch_ptr 0
		.amdhsa_user_sgpr_queue_ptr 0
		.amdhsa_user_sgpr_kernarg_segment_ptr 1
		.amdhsa_user_sgpr_dispatch_id 0
		.amdhsa_user_sgpr_flat_scratch_init 0
		.amdhsa_user_sgpr_kernarg_preload_length 0
		.amdhsa_user_sgpr_kernarg_preload_offset 0
		.amdhsa_user_sgpr_private_segment_size 0
		.amdhsa_uses_dynamic_stack 0
		.amdhsa_system_sgpr_private_segment_wavefront_offset 0
		.amdhsa_system_sgpr_workgroup_id_x 1
		.amdhsa_system_sgpr_workgroup_id_y 0
		.amdhsa_system_sgpr_workgroup_id_z 0
		.amdhsa_system_sgpr_workgroup_info 0
		.amdhsa_system_vgpr_workitem_id 0
		.amdhsa_next_free_vgpr 12
		.amdhsa_next_free_sgpr 17
		.amdhsa_accum_offset 12
		.amdhsa_reserve_vcc 1
		.amdhsa_reserve_flat_scratch 0
		.amdhsa_float_round_mode_32 0
		.amdhsa_float_round_mode_16_64 0
		.amdhsa_float_denorm_mode_32 3
		.amdhsa_float_denorm_mode_16_64 3
		.amdhsa_dx10_clamp 1
		.amdhsa_ieee_mode 1
		.amdhsa_fp16_overflow 0
		.amdhsa_tg_split 0
		.amdhsa_exception_fp_ieee_invalid_op 0
		.amdhsa_exception_fp_denorm_src 0
		.amdhsa_exception_fp_ieee_div_zero 0
		.amdhsa_exception_fp_ieee_overflow 0
		.amdhsa_exception_fp_ieee_underflow 0
		.amdhsa_exception_fp_ieee_inexact 0
		.amdhsa_exception_int_div_zero 0
	.end_amdhsa_kernel
	.section	.text._Z18warp_reduce_kernelILb0EoLj61ELj100EEvPKT0_PS0_,"axG",@progbits,_Z18warp_reduce_kernelILb0EoLj61ELj100EEvPKT0_PS0_,comdat
.Lfunc_end30:
	.size	_Z18warp_reduce_kernelILb0EoLj61ELj100EEvPKT0_PS0_, .Lfunc_end30-_Z18warp_reduce_kernelILb0EoLj61ELj100EEvPKT0_PS0_
                                        ; -- End function
	.section	.AMDGPU.csdata,"",@progbits
; Kernel info:
; codeLenInByte = 628
; NumSgprs: 21
; NumVgprs: 12
; NumAgprs: 0
; TotalNumVgprs: 12
; ScratchSize: 0
; MemoryBound: 0
; FloatMode: 240
; IeeeMode: 1
; LDSByteSize: 976 bytes/workgroup (compile time only)
; SGPRBlocks: 2
; VGPRBlocks: 1
; NumSGPRsForWavesPerEU: 21
; NumVGPRsForWavesPerEU: 12
; AccumOffset: 12
; Occupancy: 8
; WaveLimiterHint : 0
; COMPUTE_PGM_RSRC2:SCRATCH_EN: 0
; COMPUTE_PGM_RSRC2:USER_SGPR: 6
; COMPUTE_PGM_RSRC2:TRAP_HANDLER: 0
; COMPUTE_PGM_RSRC2:TGID_X_EN: 1
; COMPUTE_PGM_RSRC2:TGID_Y_EN: 0
; COMPUTE_PGM_RSRC2:TGID_Z_EN: 0
; COMPUTE_PGM_RSRC2:TIDIG_COMP_CNT: 0
; COMPUTE_PGM_RSRC3_GFX90A:ACCUM_OFFSET: 2
; COMPUTE_PGM_RSRC3_GFX90A:TG_SPLIT: 0
	.section	.text._Z18warp_reduce_kernelILb0EoLj64ELj100EEvPKT0_PS0_,"axG",@progbits,_Z18warp_reduce_kernelILb0EoLj64ELj100EEvPKT0_PS0_,comdat
	.protected	_Z18warp_reduce_kernelILb0EoLj64ELj100EEvPKT0_PS0_ ; -- Begin function _Z18warp_reduce_kernelILb0EoLj64ELj100EEvPKT0_PS0_
	.globl	_Z18warp_reduce_kernelILb0EoLj64ELj100EEvPKT0_PS0_
	.p2align	8
	.type	_Z18warp_reduce_kernelILb0EoLj64ELj100EEvPKT0_PS0_,@function
_Z18warp_reduce_kernelILb0EoLj64ELj100EEvPKT0_PS0_: ; @_Z18warp_reduce_kernelILb0EoLj64ELj100EEvPKT0_PS0_
; %bb.0:
	s_load_dword s7, s[4:5], 0x1c
	s_load_dwordx4 s[0:3], s[4:5], 0x0
	v_mov_b32_e32 v1, 0
	v_mbcnt_lo_u32_b32 v6, -1, 0
	v_mbcnt_hi_u32_b32 v6, -1, v6
	s_waitcnt lgkmcnt(0)
	s_and_b32 s4, s7, 0xffff
	s_mul_i32 s6, s6, s4
	v_add_u32_e32 v0, s6, v0
	v_lshlrev_b64 v[4:5], 4, v[0:1]
	v_mov_b32_e32 v1, s1
	v_add_co_u32_e32 v0, vcc, s0, v4
	v_addc_co_u32_e32 v1, vcc, v1, v5, vcc
	global_load_dwordx4 v[0:3], v[0:1], off
	v_bfrev_b32_e32 v7, 0.5
	v_lshl_or_b32 v6, v6, 2, v7
	s_movk_i32 s0, 0x64
.LBB31_1:                               ; =>This Inner Loop Header: Depth=1
	s_waitcnt vmcnt(0) lgkmcnt(3)
	v_mov_b32_dpp v7, v0 quad_perm:[1,0,3,2] row_mask:0xf bank_mask:0xf
	v_add_co_u32_e32 v0, vcc, v0, v7
	s_waitcnt lgkmcnt(2)
	v_mov_b32_dpp v8, v1 quad_perm:[1,0,3,2] row_mask:0xf bank_mask:0xf
	v_addc_co_u32_e32 v1, vcc, 0, v1, vcc
	s_waitcnt lgkmcnt(1)
	v_mov_b32_dpp v9, v2 quad_perm:[1,0,3,2] row_mask:0xf bank_mask:0xf
	v_addc_co_u32_e32 v2, vcc, 0, v2, vcc
	;; [unrolled: 3-line block ×3, first 2 shown]
	v_add_co_u32_e32 v7, vcc, 0, v0
	v_addc_co_u32_e32 v1, vcc, v8, v1, vcc
	v_addc_co_u32_e32 v2, vcc, 0, v2, vcc
	;; [unrolled: 1-line block ×3, first 2 shown]
	v_add_co_u32_e32 v2, vcc, v2, v9
	v_addc_co_u32_e32 v3, vcc, 0, v3, vcc
	v_add_co_u32_e32 v8, vcc, 0, v2
	v_addc_co_u32_e32 v3, vcc, v3, v10, vcc
	v_mov_b32_dpp v0, v0 quad_perm:[2,3,0,1] row_mask:0xf bank_mask:0xf
	v_add_co_u32_e32 v0, vcc, v7, v0
	v_mov_b32_dpp v9, v1 quad_perm:[2,3,0,1] row_mask:0xf bank_mask:0xf
	v_addc_co_u32_e32 v1, vcc, 0, v1, vcc
	v_addc_co_u32_e32 v7, vcc, 0, v8, vcc
	v_mov_b32_dpp v10, v3 quad_perm:[2,3,0,1] row_mask:0xf bank_mask:0xf
	v_addc_co_u32_e32 v3, vcc, 0, v3, vcc
	v_add_co_u32_e32 v8, vcc, 0, v0
	v_addc_co_u32_e32 v1, vcc, v1, v9, vcc
	v_addc_co_u32_e32 v7, vcc, 0, v7, vcc
	v_mov_b32_dpp v2, v2 quad_perm:[2,3,0,1] row_mask:0xf bank_mask:0xf
	v_addc_co_u32_e32 v3, vcc, 0, v3, vcc
	v_add_co_u32_e32 v2, vcc, v7, v2
	v_addc_co_u32_e32 v3, vcc, 0, v3, vcc
	v_add_co_u32_e32 v7, vcc, 0, v2
	v_addc_co_u32_e32 v3, vcc, v3, v10, vcc
	v_mov_b32_dpp v0, v0 row_ror:4 row_mask:0xf bank_mask:0xf
	v_add_co_u32_e32 v0, vcc, v8, v0
	v_mov_b32_dpp v9, v1 row_ror:4 row_mask:0xf bank_mask:0xf
	v_addc_co_u32_e32 v1, vcc, 0, v1, vcc
	v_addc_co_u32_e32 v7, vcc, 0, v7, vcc
	v_mov_b32_dpp v10, v3 row_ror:4 row_mask:0xf bank_mask:0xf
	v_addc_co_u32_e32 v3, vcc, 0, v3, vcc
	v_add_co_u32_e32 v8, vcc, 0, v0
	v_addc_co_u32_e32 v1, vcc, v1, v9, vcc
	v_addc_co_u32_e32 v7, vcc, 0, v7, vcc
	v_mov_b32_dpp v2, v2 row_ror:4 row_mask:0xf bank_mask:0xf
	v_addc_co_u32_e32 v3, vcc, 0, v3, vcc
	v_add_co_u32_e32 v2, vcc, v7, v2
	v_addc_co_u32_e32 v3, vcc, 0, v3, vcc
	v_add_co_u32_e32 v7, vcc, 0, v2
	v_addc_co_u32_e32 v3, vcc, v3, v10, vcc
	v_mov_b32_dpp v0, v0 row_ror:8 row_mask:0xf bank_mask:0xf
	v_add_co_u32_e32 v0, vcc, v8, v0
	v_mov_b32_dpp v9, v1 row_ror:8 row_mask:0xf bank_mask:0xf
	v_addc_co_u32_e32 v1, vcc, 0, v1, vcc
	v_addc_co_u32_e32 v7, vcc, 0, v7, vcc
	v_mov_b32_dpp v10, v3 row_ror:8 row_mask:0xf bank_mask:0xf
	v_addc_co_u32_e32 v3, vcc, 0, v3, vcc
	v_add_co_u32_e32 v8, vcc, 0, v0
	v_addc_co_u32_e32 v1, vcc, v1, v9, vcc
	v_addc_co_u32_e32 v7, vcc, 0, v7, vcc
	v_mov_b32_dpp v2, v2 row_ror:8 row_mask:0xf bank_mask:0xf
	v_addc_co_u32_e32 v3, vcc, 0, v3, vcc
	v_add_co_u32_e32 v2, vcc, v7, v2
	v_addc_co_u32_e32 v3, vcc, 0, v3, vcc
	v_add_co_u32_e32 v7, vcc, 0, v2
	v_addc_co_u32_e32 v3, vcc, v3, v10, vcc
	v_mov_b32_dpp v0, v0 row_bcast:15 row_mask:0xf bank_mask:0xf
	v_mov_b32_dpp v9, v1 row_bcast:15 row_mask:0xf bank_mask:0xf
	v_add_co_u32_e32 v0, vcc, v0, v8
	v_addc_co_u32_e32 v1, vcc, v9, v1, vcc
	v_addc_co_u32_e32 v7, vcc, 0, v7, vcc
	v_mov_b32_dpp v2, v2 row_bcast:15 row_mask:0xf bank_mask:0xf
	v_mov_b32_dpp v10, v3 row_bcast:15 row_mask:0xf bank_mask:0xf
	v_addc_co_u32_e32 v3, vcc, 0, v3, vcc
	v_add_co_u32_e32 v2, vcc, v7, v2
	v_addc_co_u32_e32 v3, vcc, 0, v3, vcc
	v_add_co_u32_e32 v7, vcc, 0, v2
	v_addc_co_u32_e32 v3, vcc, v3, v10, vcc
	v_mov_b32_dpp v8, v0 row_bcast:31 row_mask:0xf bank_mask:0xf
	v_mov_b32_dpp v9, v1 row_bcast:31 row_mask:0xf bank_mask:0xf
	v_add_co_u32_e32 v0, vcc, v8, v0
	v_addc_co_u32_e32 v1, vcc, v9, v1, vcc
	v_addc_co_u32_e32 v7, vcc, 0, v7, vcc
	v_mov_b32_dpp v2, v2 row_bcast:31 row_mask:0xf bank_mask:0xf
	v_mov_b32_dpp v10, v3 row_bcast:31 row_mask:0xf bank_mask:0xf
	v_addc_co_u32_e32 v3, vcc, 0, v3, vcc
	v_add_co_u32_e32 v2, vcc, v7, v2
	v_addc_co_u32_e32 v3, vcc, 0, v3, vcc
	v_add_u32_e32 v3, v10, v3
	ds_bpermute_b32 v0, v6, v0
	ds_bpermute_b32 v1, v6, v1
	;; [unrolled: 1-line block ×4, first 2 shown]
	s_add_i32 s0, s0, -1
	s_cmp_eq_u32 s0, 0
	s_cbranch_scc0 .LBB31_1
; %bb.2:
	v_mov_b32_e32 v6, s3
	v_add_co_u32_e32 v4, vcc, s2, v4
	v_addc_co_u32_e32 v5, vcc, v6, v5, vcc
	s_waitcnt lgkmcnt(0)
	global_store_dwordx4 v[4:5], v[0:3], off
	s_endpgm
	.section	.rodata,"a",@progbits
	.p2align	6, 0x0
	.amdhsa_kernel _Z18warp_reduce_kernelILb0EoLj64ELj100EEvPKT0_PS0_
		.amdhsa_group_segment_fixed_size 0
		.amdhsa_private_segment_fixed_size 0
		.amdhsa_kernarg_size 272
		.amdhsa_user_sgpr_count 6
		.amdhsa_user_sgpr_private_segment_buffer 1
		.amdhsa_user_sgpr_dispatch_ptr 0
		.amdhsa_user_sgpr_queue_ptr 0
		.amdhsa_user_sgpr_kernarg_segment_ptr 1
		.amdhsa_user_sgpr_dispatch_id 0
		.amdhsa_user_sgpr_flat_scratch_init 0
		.amdhsa_user_sgpr_kernarg_preload_length 0
		.amdhsa_user_sgpr_kernarg_preload_offset 0
		.amdhsa_user_sgpr_private_segment_size 0
		.amdhsa_uses_dynamic_stack 0
		.amdhsa_system_sgpr_private_segment_wavefront_offset 0
		.amdhsa_system_sgpr_workgroup_id_x 1
		.amdhsa_system_sgpr_workgroup_id_y 0
		.amdhsa_system_sgpr_workgroup_id_z 0
		.amdhsa_system_sgpr_workgroup_info 0
		.amdhsa_system_vgpr_workitem_id 0
		.amdhsa_next_free_vgpr 11
		.amdhsa_next_free_sgpr 8
		.amdhsa_accum_offset 12
		.amdhsa_reserve_vcc 1
		.amdhsa_reserve_flat_scratch 0
		.amdhsa_float_round_mode_32 0
		.amdhsa_float_round_mode_16_64 0
		.amdhsa_float_denorm_mode_32 3
		.amdhsa_float_denorm_mode_16_64 3
		.amdhsa_dx10_clamp 1
		.amdhsa_ieee_mode 1
		.amdhsa_fp16_overflow 0
		.amdhsa_tg_split 0
		.amdhsa_exception_fp_ieee_invalid_op 0
		.amdhsa_exception_fp_denorm_src 0
		.amdhsa_exception_fp_ieee_div_zero 0
		.amdhsa_exception_fp_ieee_overflow 0
		.amdhsa_exception_fp_ieee_underflow 0
		.amdhsa_exception_fp_ieee_inexact 0
		.amdhsa_exception_int_div_zero 0
	.end_amdhsa_kernel
	.section	.text._Z18warp_reduce_kernelILb0EoLj64ELj100EEvPKT0_PS0_,"axG",@progbits,_Z18warp_reduce_kernelILb0EoLj64ELj100EEvPKT0_PS0_,comdat
.Lfunc_end31:
	.size	_Z18warp_reduce_kernelILb0EoLj64ELj100EEvPKT0_PS0_, .Lfunc_end31-_Z18warp_reduce_kernelILb0EoLj64ELj100EEvPKT0_PS0_
                                        ; -- End function
	.section	.AMDGPU.csdata,"",@progbits
; Kernel info:
; codeLenInByte = 632
; NumSgprs: 12
; NumVgprs: 11
; NumAgprs: 0
; TotalNumVgprs: 11
; ScratchSize: 0
; MemoryBound: 0
; FloatMode: 240
; IeeeMode: 1
; LDSByteSize: 0 bytes/workgroup (compile time only)
; SGPRBlocks: 1
; VGPRBlocks: 1
; NumSGPRsForWavesPerEU: 12
; NumVGPRsForWavesPerEU: 11
; AccumOffset: 12
; Occupancy: 8
; WaveLimiterHint : 0
; COMPUTE_PGM_RSRC2:SCRATCH_EN: 0
; COMPUTE_PGM_RSRC2:USER_SGPR: 6
; COMPUTE_PGM_RSRC2:TRAP_HANDLER: 0
; COMPUTE_PGM_RSRC2:TGID_X_EN: 1
; COMPUTE_PGM_RSRC2:TGID_Y_EN: 0
; COMPUTE_PGM_RSRC2:TGID_Z_EN: 0
; COMPUTE_PGM_RSRC2:TIDIG_COMP_CNT: 0
; COMPUTE_PGM_RSRC3_GFX90A:ACCUM_OFFSET: 2
; COMPUTE_PGM_RSRC3_GFX90A:TG_SPLIT: 0
	.section	.text._Z18warp_reduce_kernelILb1EiLj32ELj100EEvPKT0_PS0_,"axG",@progbits,_Z18warp_reduce_kernelILb1EiLj32ELj100EEvPKT0_PS0_,comdat
	.protected	_Z18warp_reduce_kernelILb1EiLj32ELj100EEvPKT0_PS0_ ; -- Begin function _Z18warp_reduce_kernelILb1EiLj32ELj100EEvPKT0_PS0_
	.globl	_Z18warp_reduce_kernelILb1EiLj32ELj100EEvPKT0_PS0_
	.p2align	8
	.type	_Z18warp_reduce_kernelILb1EiLj32ELj100EEvPKT0_PS0_,@function
_Z18warp_reduce_kernelILb1EiLj32ELj100EEvPKT0_PS0_: ; @_Z18warp_reduce_kernelILb1EiLj32ELj100EEvPKT0_PS0_
; %bb.0:
	s_load_dword s7, s[4:5], 0x1c
	s_load_dwordx4 s[0:3], s[4:5], 0x0
	v_mov_b32_e32 v1, 0
	s_waitcnt lgkmcnt(0)
	s_and_b32 s4, s7, 0xffff
	s_mul_i32 s6, s6, s4
	v_add_u32_e32 v0, s6, v0
	v_lshlrev_b64 v[0:1], 2, v[0:1]
	v_mov_b32_e32 v3, s1
	v_add_co_u32_e32 v2, vcc, s0, v0
	v_addc_co_u32_e32 v3, vcc, v3, v1, vcc
	global_load_dword v2, v[2:3], off
	v_mbcnt_lo_u32_b32 v3, -1, 0
	v_mbcnt_hi_u32_b32 v8, -1, v3
	v_and_b32_e32 v7, 31, v8
	v_cmp_ne_u32_e32 vcc, 31, v7
	v_addc_co_u32_e32 v3, vcc, 0, v8, vcc
	v_cmp_gt_u32_e32 vcc, 30, v7
	v_cndmask_b32_e64 v4, 0, 1, vcc
	v_cmp_gt_u32_e32 vcc, 28, v7
	v_cndmask_b32_e64 v5, 0, 1, vcc
	;; [unrolled: 2-line block ×4, first 2 shown]
	v_lshlrev_b32_e32 v4, 1, v4
	v_lshlrev_b32_e32 v5, 2, v5
	;; [unrolled: 1-line block ×4, first 2 shown]
	v_add_lshl_u32 v4, v4, v8, 2
	v_add_lshl_u32 v5, v5, v8, 2
	v_add_lshl_u32 v6, v6, v8, 2
	v_add_lshl_u32 v7, v7, v8, 2
	v_lshlrev_b32_e32 v8, 2, v8
	v_lshlrev_b32_e32 v3, 2, v3
	v_and_b32_e32 v8, 0x180, v8
	s_movk_i32 s0, 0x64
.LBB32_1:                               ; =>This Inner Loop Header: Depth=1
	s_waitcnt vmcnt(0) lgkmcnt(0)
	ds_bpermute_b32 v9, v3, v2
	s_add_i32 s0, s0, -1
	s_cmp_eq_u32 s0, 0
	s_waitcnt lgkmcnt(0)
	v_add_u32_e32 v2, v9, v2
	ds_bpermute_b32 v9, v4, v2
	s_waitcnt lgkmcnt(0)
	v_add_u32_e32 v2, v9, v2
	ds_bpermute_b32 v9, v5, v2
	;; [unrolled: 3-line block ×5, first 2 shown]
	s_cbranch_scc0 .LBB32_1
; %bb.2:
	v_mov_b32_e32 v3, s3
	v_add_co_u32_e32 v0, vcc, s2, v0
	v_addc_co_u32_e32 v1, vcc, v3, v1, vcc
	s_waitcnt lgkmcnt(0)
	global_store_dword v[0:1], v2, off
	s_endpgm
	.section	.rodata,"a",@progbits
	.p2align	6, 0x0
	.amdhsa_kernel _Z18warp_reduce_kernelILb1EiLj32ELj100EEvPKT0_PS0_
		.amdhsa_group_segment_fixed_size 0
		.amdhsa_private_segment_fixed_size 0
		.amdhsa_kernarg_size 272
		.amdhsa_user_sgpr_count 6
		.amdhsa_user_sgpr_private_segment_buffer 1
		.amdhsa_user_sgpr_dispatch_ptr 0
		.amdhsa_user_sgpr_queue_ptr 0
		.amdhsa_user_sgpr_kernarg_segment_ptr 1
		.amdhsa_user_sgpr_dispatch_id 0
		.amdhsa_user_sgpr_flat_scratch_init 0
		.amdhsa_user_sgpr_kernarg_preload_length 0
		.amdhsa_user_sgpr_kernarg_preload_offset 0
		.amdhsa_user_sgpr_private_segment_size 0
		.amdhsa_uses_dynamic_stack 0
		.amdhsa_system_sgpr_private_segment_wavefront_offset 0
		.amdhsa_system_sgpr_workgroup_id_x 1
		.amdhsa_system_sgpr_workgroup_id_y 0
		.amdhsa_system_sgpr_workgroup_id_z 0
		.amdhsa_system_sgpr_workgroup_info 0
		.amdhsa_system_vgpr_workitem_id 0
		.amdhsa_next_free_vgpr 10
		.amdhsa_next_free_sgpr 8
		.amdhsa_accum_offset 12
		.amdhsa_reserve_vcc 1
		.amdhsa_reserve_flat_scratch 0
		.amdhsa_float_round_mode_32 0
		.amdhsa_float_round_mode_16_64 0
		.amdhsa_float_denorm_mode_32 3
		.amdhsa_float_denorm_mode_16_64 3
		.amdhsa_dx10_clamp 1
		.amdhsa_ieee_mode 1
		.amdhsa_fp16_overflow 0
		.amdhsa_tg_split 0
		.amdhsa_exception_fp_ieee_invalid_op 0
		.amdhsa_exception_fp_denorm_src 0
		.amdhsa_exception_fp_ieee_div_zero 0
		.amdhsa_exception_fp_ieee_overflow 0
		.amdhsa_exception_fp_ieee_underflow 0
		.amdhsa_exception_fp_ieee_inexact 0
		.amdhsa_exception_int_div_zero 0
	.end_amdhsa_kernel
	.section	.text._Z18warp_reduce_kernelILb1EiLj32ELj100EEvPKT0_PS0_,"axG",@progbits,_Z18warp_reduce_kernelILb1EiLj32ELj100EEvPKT0_PS0_,comdat
.Lfunc_end32:
	.size	_Z18warp_reduce_kernelILb1EiLj32ELj100EEvPKT0_PS0_, .Lfunc_end32-_Z18warp_reduce_kernelILb1EiLj32ELj100EEvPKT0_PS0_
                                        ; -- End function
	.section	.AMDGPU.csdata,"",@progbits
; Kernel info:
; codeLenInByte = 344
; NumSgprs: 12
; NumVgprs: 10
; NumAgprs: 0
; TotalNumVgprs: 10
; ScratchSize: 0
; MemoryBound: 0
; FloatMode: 240
; IeeeMode: 1
; LDSByteSize: 0 bytes/workgroup (compile time only)
; SGPRBlocks: 1
; VGPRBlocks: 1
; NumSGPRsForWavesPerEU: 12
; NumVGPRsForWavesPerEU: 10
; AccumOffset: 12
; Occupancy: 8
; WaveLimiterHint : 0
; COMPUTE_PGM_RSRC2:SCRATCH_EN: 0
; COMPUTE_PGM_RSRC2:USER_SGPR: 6
; COMPUTE_PGM_RSRC2:TRAP_HANDLER: 0
; COMPUTE_PGM_RSRC2:TGID_X_EN: 1
; COMPUTE_PGM_RSRC2:TGID_Y_EN: 0
; COMPUTE_PGM_RSRC2:TGID_Z_EN: 0
; COMPUTE_PGM_RSRC2:TIDIG_COMP_CNT: 0
; COMPUTE_PGM_RSRC3_GFX90A:ACCUM_OFFSET: 2
; COMPUTE_PGM_RSRC3_GFX90A:TG_SPLIT: 0
	.section	.text._Z18warp_reduce_kernelILb1EiLj37ELj100EEvPKT0_PS0_,"axG",@progbits,_Z18warp_reduce_kernelILb1EiLj37ELj100EEvPKT0_PS0_,comdat
	.protected	_Z18warp_reduce_kernelILb1EiLj37ELj100EEvPKT0_PS0_ ; -- Begin function _Z18warp_reduce_kernelILb1EiLj37ELj100EEvPKT0_PS0_
	.globl	_Z18warp_reduce_kernelILb1EiLj37ELj100EEvPKT0_PS0_
	.p2align	8
	.type	_Z18warp_reduce_kernelILb1EiLj37ELj100EEvPKT0_PS0_,@function
_Z18warp_reduce_kernelILb1EiLj37ELj100EEvPKT0_PS0_: ; @_Z18warp_reduce_kernelILb1EiLj37ELj100EEvPKT0_PS0_
; %bb.0:
	s_load_dword s0, s[4:5], 0x1c
	s_load_dwordx4 s[8:11], s[4:5], 0x0
	v_mov_b32_e32 v1, 0
	s_movk_i32 s14, 0x64
	s_waitcnt lgkmcnt(0)
	s_and_b32 s0, s0, 0xffff
	s_mul_i32 s6, s6, s0
	v_add_u32_e32 v0, s6, v0
	v_lshlrev_b64 v[2:3], 2, v[0:1]
	v_mov_b32_e32 v0, s9
	v_add_co_u32_e32 v4, vcc, s8, v2
	v_addc_co_u32_e32 v5, vcc, v0, v3, vcc
	global_load_dword v4, v[4:5], off
	v_mbcnt_lo_u32_b32 v0, -1, 0
	v_mbcnt_hi_u32_b32 v0, -1, v0
	s_mov_b32 s0, 0x6eb3e46
	v_mul_hi_u32 v5, v0, s0
	v_mul_u32_u24_e32 v5, 37, v5
	v_sub_u32_e32 v5, v0, v5
	v_lshlrev_b32_e32 v0, 2, v5
	v_cmp_gt_u32_e32 vcc, 5, v5
	v_cmp_gt_u32_e64 s[0:1], 16, v5
	v_cmp_gt_u32_e64 s[2:3], 8, v5
	v_cmp_gt_u32_e64 s[4:5], 4, v5
	v_cmp_gt_u32_e64 s[6:7], 2, v5
	v_cmp_eq_u32_e64 s[8:9], 0, v5
	s_branch .LBB33_2
.LBB33_1:                               ;   in Loop: Header=BB33_2 Depth=1
	s_or_b64 exec, exec, s[12:13]
	; wave barrier
	ds_read_b32 v4, v1
	s_add_i32 s14, s14, -1
	s_cmp_eq_u32 s14, 0
	s_cbranch_scc1 .LBB33_26
.LBB33_2:                               ; =>This Inner Loop Header: Depth=1
	s_waitcnt vmcnt(0) lgkmcnt(0)
	ds_write_b32 v0, v4
	; wave barrier
	s_and_saveexec_b64 s[12:13], vcc
	s_cbranch_execz .LBB33_4
; %bb.3:                                ;   in Loop: Header=BB33_2 Depth=1
	ds_read2_b32 v[4:5], v0 offset1:32
	s_waitcnt lgkmcnt(0)
	v_add_u32_e32 v4, v5, v4
.LBB33_4:                               ;   in Loop: Header=BB33_2 Depth=1
	s_or_b64 exec, exec, s[12:13]
	; wave barrier
	s_and_saveexec_b64 s[12:13], vcc
	s_cbranch_execz .LBB33_6
; %bb.5:                                ;   in Loop: Header=BB33_2 Depth=1
	ds_write_b32 v0, v4
.LBB33_6:                               ;   in Loop: Header=BB33_2 Depth=1
	s_or_b64 exec, exec, s[12:13]
	; wave barrier
	s_and_saveexec_b64 s[12:13], s[0:1]
	s_cbranch_execz .LBB33_8
; %bb.7:                                ;   in Loop: Header=BB33_2 Depth=1
	ds_read2_b32 v[4:5], v0 offset1:16
	s_waitcnt lgkmcnt(0)
	v_add_u32_e32 v4, v5, v4
.LBB33_8:                               ;   in Loop: Header=BB33_2 Depth=1
	s_or_b64 exec, exec, s[12:13]
	; wave barrier
	s_and_saveexec_b64 s[12:13], s[0:1]
	s_cbranch_execz .LBB33_10
; %bb.9:                                ;   in Loop: Header=BB33_2 Depth=1
	ds_write_b32 v0, v4
.LBB33_10:                              ;   in Loop: Header=BB33_2 Depth=1
	s_or_b64 exec, exec, s[12:13]
	; wave barrier
	s_and_saveexec_b64 s[12:13], s[2:3]
	s_cbranch_execz .LBB33_12
; %bb.11:                               ;   in Loop: Header=BB33_2 Depth=1
	ds_read2_b32 v[4:5], v0 offset1:8
	s_waitcnt lgkmcnt(0)
	v_add_u32_e32 v4, v5, v4
.LBB33_12:                              ;   in Loop: Header=BB33_2 Depth=1
	s_or_b64 exec, exec, s[12:13]
	; wave barrier
	s_and_saveexec_b64 s[12:13], s[2:3]
	s_cbranch_execz .LBB33_14
; %bb.13:                               ;   in Loop: Header=BB33_2 Depth=1
	ds_write_b32 v0, v4
.LBB33_14:                              ;   in Loop: Header=BB33_2 Depth=1
	s_or_b64 exec, exec, s[12:13]
	; wave barrier
	s_and_saveexec_b64 s[12:13], s[4:5]
	s_cbranch_execz .LBB33_16
; %bb.15:                               ;   in Loop: Header=BB33_2 Depth=1
	ds_read2_b32 v[4:5], v0 offset1:4
	s_waitcnt lgkmcnt(0)
	v_add_u32_e32 v4, v5, v4
.LBB33_16:                              ;   in Loop: Header=BB33_2 Depth=1
	s_or_b64 exec, exec, s[12:13]
	; wave barrier
	s_and_saveexec_b64 s[12:13], s[4:5]
	s_cbranch_execz .LBB33_18
; %bb.17:                               ;   in Loop: Header=BB33_2 Depth=1
	ds_write_b32 v0, v4
.LBB33_18:                              ;   in Loop: Header=BB33_2 Depth=1
	;; [unrolled: 16-line block ×3, first 2 shown]
	s_or_b64 exec, exec, s[12:13]
	; wave barrier
	s_and_saveexec_b64 s[12:13], s[8:9]
	s_cbranch_execz .LBB33_24
; %bb.23:                               ;   in Loop: Header=BB33_2 Depth=1
	ds_read_b32 v4, v0
	ds_read_b32 v5, v1 offset:4
	s_waitcnt lgkmcnt(0)
	v_add_u32_e32 v4, v5, v4
.LBB33_24:                              ;   in Loop: Header=BB33_2 Depth=1
	s_or_b64 exec, exec, s[12:13]
	; wave barrier
	s_and_saveexec_b64 s[12:13], s[8:9]
	s_cbranch_execz .LBB33_1
; %bb.25:                               ;   in Loop: Header=BB33_2 Depth=1
	ds_write_b32 v0, v4
	s_branch .LBB33_1
.LBB33_26:
	v_mov_b32_e32 v1, s11
	v_add_co_u32_e32 v0, vcc, s10, v2
	v_addc_co_u32_e32 v1, vcc, v1, v3, vcc
	s_waitcnt lgkmcnt(0)
	global_store_dword v[0:1], v4, off
	s_endpgm
	.section	.rodata,"a",@progbits
	.p2align	6, 0x0
	.amdhsa_kernel _Z18warp_reduce_kernelILb1EiLj37ELj100EEvPKT0_PS0_
		.amdhsa_group_segment_fixed_size 148
		.amdhsa_private_segment_fixed_size 0
		.amdhsa_kernarg_size 272
		.amdhsa_user_sgpr_count 6
		.amdhsa_user_sgpr_private_segment_buffer 1
		.amdhsa_user_sgpr_dispatch_ptr 0
		.amdhsa_user_sgpr_queue_ptr 0
		.amdhsa_user_sgpr_kernarg_segment_ptr 1
		.amdhsa_user_sgpr_dispatch_id 0
		.amdhsa_user_sgpr_flat_scratch_init 0
		.amdhsa_user_sgpr_kernarg_preload_length 0
		.amdhsa_user_sgpr_kernarg_preload_offset 0
		.amdhsa_user_sgpr_private_segment_size 0
		.amdhsa_uses_dynamic_stack 0
		.amdhsa_system_sgpr_private_segment_wavefront_offset 0
		.amdhsa_system_sgpr_workgroup_id_x 1
		.amdhsa_system_sgpr_workgroup_id_y 0
		.amdhsa_system_sgpr_workgroup_id_z 0
		.amdhsa_system_sgpr_workgroup_info 0
		.amdhsa_system_vgpr_workitem_id 0
		.amdhsa_next_free_vgpr 6
		.amdhsa_next_free_sgpr 15
		.amdhsa_accum_offset 8
		.amdhsa_reserve_vcc 1
		.amdhsa_reserve_flat_scratch 0
		.amdhsa_float_round_mode_32 0
		.amdhsa_float_round_mode_16_64 0
		.amdhsa_float_denorm_mode_32 3
		.amdhsa_float_denorm_mode_16_64 3
		.amdhsa_dx10_clamp 1
		.amdhsa_ieee_mode 1
		.amdhsa_fp16_overflow 0
		.amdhsa_tg_split 0
		.amdhsa_exception_fp_ieee_invalid_op 0
		.amdhsa_exception_fp_denorm_src 0
		.amdhsa_exception_fp_ieee_div_zero 0
		.amdhsa_exception_fp_ieee_overflow 0
		.amdhsa_exception_fp_ieee_underflow 0
		.amdhsa_exception_fp_ieee_inexact 0
		.amdhsa_exception_int_div_zero 0
	.end_amdhsa_kernel
	.section	.text._Z18warp_reduce_kernelILb1EiLj37ELj100EEvPKT0_PS0_,"axG",@progbits,_Z18warp_reduce_kernelILb1EiLj37ELj100EEvPKT0_PS0_,comdat
.Lfunc_end33:
	.size	_Z18warp_reduce_kernelILb1EiLj37ELj100EEvPKT0_PS0_, .Lfunc_end33-_Z18warp_reduce_kernelILb1EiLj37ELj100EEvPKT0_PS0_
                                        ; -- End function
	.section	.AMDGPU.csdata,"",@progbits
; Kernel info:
; codeLenInByte = 524
; NumSgprs: 19
; NumVgprs: 6
; NumAgprs: 0
; TotalNumVgprs: 6
; ScratchSize: 0
; MemoryBound: 0
; FloatMode: 240
; IeeeMode: 1
; LDSByteSize: 148 bytes/workgroup (compile time only)
; SGPRBlocks: 2
; VGPRBlocks: 0
; NumSGPRsForWavesPerEU: 19
; NumVGPRsForWavesPerEU: 6
; AccumOffset: 8
; Occupancy: 8
; WaveLimiterHint : 0
; COMPUTE_PGM_RSRC2:SCRATCH_EN: 0
; COMPUTE_PGM_RSRC2:USER_SGPR: 6
; COMPUTE_PGM_RSRC2:TRAP_HANDLER: 0
; COMPUTE_PGM_RSRC2:TGID_X_EN: 1
; COMPUTE_PGM_RSRC2:TGID_Y_EN: 0
; COMPUTE_PGM_RSRC2:TGID_Z_EN: 0
; COMPUTE_PGM_RSRC2:TIDIG_COMP_CNT: 0
; COMPUTE_PGM_RSRC3_GFX90A:ACCUM_OFFSET: 1
; COMPUTE_PGM_RSRC3_GFX90A:TG_SPLIT: 0
	.section	.text._Z18warp_reduce_kernelILb1EiLj61ELj100EEvPKT0_PS0_,"axG",@progbits,_Z18warp_reduce_kernelILb1EiLj61ELj100EEvPKT0_PS0_,comdat
	.protected	_Z18warp_reduce_kernelILb1EiLj61ELj100EEvPKT0_PS0_ ; -- Begin function _Z18warp_reduce_kernelILb1EiLj61ELj100EEvPKT0_PS0_
	.globl	_Z18warp_reduce_kernelILb1EiLj61ELj100EEvPKT0_PS0_
	.p2align	8
	.type	_Z18warp_reduce_kernelILb1EiLj61ELj100EEvPKT0_PS0_,@function
_Z18warp_reduce_kernelILb1EiLj61ELj100EEvPKT0_PS0_: ; @_Z18warp_reduce_kernelILb1EiLj61ELj100EEvPKT0_PS0_
; %bb.0:
	s_load_dword s0, s[4:5], 0x1c
	s_load_dwordx4 s[8:11], s[4:5], 0x0
	v_mov_b32_e32 v1, 0
	s_movk_i32 s14, 0x64
	s_waitcnt lgkmcnt(0)
	s_and_b32 s0, s0, 0xffff
	s_mul_i32 s6, s6, s0
	v_add_u32_e32 v0, s6, v0
	v_lshlrev_b64 v[2:3], 2, v[0:1]
	v_mov_b32_e32 v0, s9
	v_add_co_u32_e32 v4, vcc, s8, v2
	v_addc_co_u32_e32 v5, vcc, v0, v3, vcc
	global_load_dword v4, v[4:5], off
	v_mbcnt_lo_u32_b32 v0, -1, 0
	v_mbcnt_hi_u32_b32 v0, -1, v0
	s_mov_b32 s0, 0x4325c54
	v_mul_hi_u32 v5, v0, s0
	v_mul_u32_u24_e32 v5, 61, v5
	v_sub_u32_e32 v5, v0, v5
	v_lshlrev_b32_e32 v0, 2, v5
	v_cmp_gt_u32_e32 vcc, 29, v5
	v_cmp_gt_u32_e64 s[0:1], 16, v5
	v_cmp_gt_u32_e64 s[2:3], 8, v5
	v_cmp_gt_u32_e64 s[4:5], 4, v5
	v_cmp_gt_u32_e64 s[6:7], 2, v5
	v_cmp_eq_u32_e64 s[8:9], 0, v5
	s_branch .LBB34_2
.LBB34_1:                               ;   in Loop: Header=BB34_2 Depth=1
	s_or_b64 exec, exec, s[12:13]
	; wave barrier
	ds_read_b32 v4, v1
	s_add_i32 s14, s14, -1
	s_cmp_eq_u32 s14, 0
	s_cbranch_scc1 .LBB34_26
.LBB34_2:                               ; =>This Inner Loop Header: Depth=1
	s_waitcnt vmcnt(0) lgkmcnt(0)
	ds_write_b32 v0, v4
	; wave barrier
	s_and_saveexec_b64 s[12:13], vcc
	s_cbranch_execz .LBB34_4
; %bb.3:                                ;   in Loop: Header=BB34_2 Depth=1
	ds_read2_b32 v[4:5], v0 offset1:32
	s_waitcnt lgkmcnt(0)
	v_add_u32_e32 v4, v5, v4
.LBB34_4:                               ;   in Loop: Header=BB34_2 Depth=1
	s_or_b64 exec, exec, s[12:13]
	; wave barrier
	s_and_saveexec_b64 s[12:13], vcc
	s_cbranch_execz .LBB34_6
; %bb.5:                                ;   in Loop: Header=BB34_2 Depth=1
	ds_write_b32 v0, v4
.LBB34_6:                               ;   in Loop: Header=BB34_2 Depth=1
	s_or_b64 exec, exec, s[12:13]
	; wave barrier
	s_and_saveexec_b64 s[12:13], s[0:1]
	s_cbranch_execz .LBB34_8
; %bb.7:                                ;   in Loop: Header=BB34_2 Depth=1
	ds_read2_b32 v[4:5], v0 offset1:16
	s_waitcnt lgkmcnt(0)
	v_add_u32_e32 v4, v5, v4
.LBB34_8:                               ;   in Loop: Header=BB34_2 Depth=1
	s_or_b64 exec, exec, s[12:13]
	; wave barrier
	s_and_saveexec_b64 s[12:13], s[0:1]
	s_cbranch_execz .LBB34_10
; %bb.9:                                ;   in Loop: Header=BB34_2 Depth=1
	ds_write_b32 v0, v4
.LBB34_10:                              ;   in Loop: Header=BB34_2 Depth=1
	s_or_b64 exec, exec, s[12:13]
	; wave barrier
	s_and_saveexec_b64 s[12:13], s[2:3]
	s_cbranch_execz .LBB34_12
; %bb.11:                               ;   in Loop: Header=BB34_2 Depth=1
	ds_read2_b32 v[4:5], v0 offset1:8
	s_waitcnt lgkmcnt(0)
	v_add_u32_e32 v4, v5, v4
.LBB34_12:                              ;   in Loop: Header=BB34_2 Depth=1
	s_or_b64 exec, exec, s[12:13]
	; wave barrier
	s_and_saveexec_b64 s[12:13], s[2:3]
	s_cbranch_execz .LBB34_14
; %bb.13:                               ;   in Loop: Header=BB34_2 Depth=1
	ds_write_b32 v0, v4
.LBB34_14:                              ;   in Loop: Header=BB34_2 Depth=1
	s_or_b64 exec, exec, s[12:13]
	; wave barrier
	s_and_saveexec_b64 s[12:13], s[4:5]
	s_cbranch_execz .LBB34_16
; %bb.15:                               ;   in Loop: Header=BB34_2 Depth=1
	ds_read2_b32 v[4:5], v0 offset1:4
	s_waitcnt lgkmcnt(0)
	v_add_u32_e32 v4, v5, v4
.LBB34_16:                              ;   in Loop: Header=BB34_2 Depth=1
	s_or_b64 exec, exec, s[12:13]
	; wave barrier
	s_and_saveexec_b64 s[12:13], s[4:5]
	s_cbranch_execz .LBB34_18
; %bb.17:                               ;   in Loop: Header=BB34_2 Depth=1
	ds_write_b32 v0, v4
.LBB34_18:                              ;   in Loop: Header=BB34_2 Depth=1
	;; [unrolled: 16-line block ×3, first 2 shown]
	s_or_b64 exec, exec, s[12:13]
	; wave barrier
	s_and_saveexec_b64 s[12:13], s[8:9]
	s_cbranch_execz .LBB34_24
; %bb.23:                               ;   in Loop: Header=BB34_2 Depth=1
	ds_read_b32 v4, v0
	ds_read_b32 v5, v1 offset:4
	s_waitcnt lgkmcnt(0)
	v_add_u32_e32 v4, v5, v4
.LBB34_24:                              ;   in Loop: Header=BB34_2 Depth=1
	s_or_b64 exec, exec, s[12:13]
	; wave barrier
	s_and_saveexec_b64 s[12:13], s[8:9]
	s_cbranch_execz .LBB34_1
; %bb.25:                               ;   in Loop: Header=BB34_2 Depth=1
	ds_write_b32 v0, v4
	s_branch .LBB34_1
.LBB34_26:
	v_mov_b32_e32 v1, s11
	v_add_co_u32_e32 v0, vcc, s10, v2
	v_addc_co_u32_e32 v1, vcc, v1, v3, vcc
	s_waitcnt lgkmcnt(0)
	global_store_dword v[0:1], v4, off
	s_endpgm
	.section	.rodata,"a",@progbits
	.p2align	6, 0x0
	.amdhsa_kernel _Z18warp_reduce_kernelILb1EiLj61ELj100EEvPKT0_PS0_
		.amdhsa_group_segment_fixed_size 244
		.amdhsa_private_segment_fixed_size 0
		.amdhsa_kernarg_size 272
		.amdhsa_user_sgpr_count 6
		.amdhsa_user_sgpr_private_segment_buffer 1
		.amdhsa_user_sgpr_dispatch_ptr 0
		.amdhsa_user_sgpr_queue_ptr 0
		.amdhsa_user_sgpr_kernarg_segment_ptr 1
		.amdhsa_user_sgpr_dispatch_id 0
		.amdhsa_user_sgpr_flat_scratch_init 0
		.amdhsa_user_sgpr_kernarg_preload_length 0
		.amdhsa_user_sgpr_kernarg_preload_offset 0
		.amdhsa_user_sgpr_private_segment_size 0
		.amdhsa_uses_dynamic_stack 0
		.amdhsa_system_sgpr_private_segment_wavefront_offset 0
		.amdhsa_system_sgpr_workgroup_id_x 1
		.amdhsa_system_sgpr_workgroup_id_y 0
		.amdhsa_system_sgpr_workgroup_id_z 0
		.amdhsa_system_sgpr_workgroup_info 0
		.amdhsa_system_vgpr_workitem_id 0
		.amdhsa_next_free_vgpr 6
		.amdhsa_next_free_sgpr 15
		.amdhsa_accum_offset 8
		.amdhsa_reserve_vcc 1
		.amdhsa_reserve_flat_scratch 0
		.amdhsa_float_round_mode_32 0
		.amdhsa_float_round_mode_16_64 0
		.amdhsa_float_denorm_mode_32 3
		.amdhsa_float_denorm_mode_16_64 3
		.amdhsa_dx10_clamp 1
		.amdhsa_ieee_mode 1
		.amdhsa_fp16_overflow 0
		.amdhsa_tg_split 0
		.amdhsa_exception_fp_ieee_invalid_op 0
		.amdhsa_exception_fp_denorm_src 0
		.amdhsa_exception_fp_ieee_div_zero 0
		.amdhsa_exception_fp_ieee_overflow 0
		.amdhsa_exception_fp_ieee_underflow 0
		.amdhsa_exception_fp_ieee_inexact 0
		.amdhsa_exception_int_div_zero 0
	.end_amdhsa_kernel
	.section	.text._Z18warp_reduce_kernelILb1EiLj61ELj100EEvPKT0_PS0_,"axG",@progbits,_Z18warp_reduce_kernelILb1EiLj61ELj100EEvPKT0_PS0_,comdat
.Lfunc_end34:
	.size	_Z18warp_reduce_kernelILb1EiLj61ELj100EEvPKT0_PS0_, .Lfunc_end34-_Z18warp_reduce_kernelILb1EiLj61ELj100EEvPKT0_PS0_
                                        ; -- End function
	.section	.AMDGPU.csdata,"",@progbits
; Kernel info:
; codeLenInByte = 524
; NumSgprs: 19
; NumVgprs: 6
; NumAgprs: 0
; TotalNumVgprs: 6
; ScratchSize: 0
; MemoryBound: 0
; FloatMode: 240
; IeeeMode: 1
; LDSByteSize: 244 bytes/workgroup (compile time only)
; SGPRBlocks: 2
; VGPRBlocks: 0
; NumSGPRsForWavesPerEU: 19
; NumVGPRsForWavesPerEU: 6
; AccumOffset: 8
; Occupancy: 8
; WaveLimiterHint : 0
; COMPUTE_PGM_RSRC2:SCRATCH_EN: 0
; COMPUTE_PGM_RSRC2:USER_SGPR: 6
; COMPUTE_PGM_RSRC2:TRAP_HANDLER: 0
; COMPUTE_PGM_RSRC2:TGID_X_EN: 1
; COMPUTE_PGM_RSRC2:TGID_Y_EN: 0
; COMPUTE_PGM_RSRC2:TGID_Z_EN: 0
; COMPUTE_PGM_RSRC2:TIDIG_COMP_CNT: 0
; COMPUTE_PGM_RSRC3_GFX90A:ACCUM_OFFSET: 1
; COMPUTE_PGM_RSRC3_GFX90A:TG_SPLIT: 0
	.section	.text._Z18warp_reduce_kernelILb1EiLj64ELj100EEvPKT0_PS0_,"axG",@progbits,_Z18warp_reduce_kernelILb1EiLj64ELj100EEvPKT0_PS0_,comdat
	.protected	_Z18warp_reduce_kernelILb1EiLj64ELj100EEvPKT0_PS0_ ; -- Begin function _Z18warp_reduce_kernelILb1EiLj64ELj100EEvPKT0_PS0_
	.globl	_Z18warp_reduce_kernelILb1EiLj64ELj100EEvPKT0_PS0_
	.p2align	8
	.type	_Z18warp_reduce_kernelILb1EiLj64ELj100EEvPKT0_PS0_,@function
_Z18warp_reduce_kernelILb1EiLj64ELj100EEvPKT0_PS0_: ; @_Z18warp_reduce_kernelILb1EiLj64ELj100EEvPKT0_PS0_
; %bb.0:
	s_load_dword s7, s[4:5], 0x1c
	s_load_dwordx4 s[0:3], s[4:5], 0x0
	v_mov_b32_e32 v1, 0
	v_bfrev_b32_e32 v4, 0.5
	s_waitcnt lgkmcnt(0)
	s_and_b32 s4, s7, 0xffff
	s_mul_i32 s6, s6, s4
	v_add_u32_e32 v0, s6, v0
	v_lshlrev_b64 v[0:1], 2, v[0:1]
	v_mov_b32_e32 v3, s1
	v_add_co_u32_e32 v2, vcc, s0, v0
	v_addc_co_u32_e32 v3, vcc, v3, v1, vcc
	global_load_dword v2, v[2:3], off
	v_mbcnt_lo_u32_b32 v3, -1, 0
	v_mbcnt_hi_u32_b32 v3, -1, v3
	v_lshl_or_b32 v3, v3, 2, v4
	s_movk_i32 s0, 0x64
.LBB35_1:                               ; =>This Inner Loop Header: Depth=1
	s_waitcnt vmcnt(0) lgkmcnt(0)
	v_mov_b32_dpp v4, v2 quad_perm:[1,0,3,2] row_mask:0xf bank_mask:0xf
	v_add_u32_e32 v2, v4, v2
	s_add_i32 s0, s0, -1
	s_cmp_eq_u32 s0, 0
	v_mov_b32_dpp v4, v2 quad_perm:[2,3,0,1] row_mask:0xf bank_mask:0xf
	v_add_u32_e32 v2, v2, v4
	s_nop 1
	v_mov_b32_dpp v4, v2 row_ror:4 row_mask:0xf bank_mask:0xf
	v_add_u32_e32 v2, v2, v4
	s_nop 1
	v_mov_b32_dpp v4, v2 row_ror:8 row_mask:0xf bank_mask:0xf
	v_add_u32_e32 v2, v2, v4
	s_nop 1
	v_mov_b32_dpp v4, v2 row_bcast:15 row_mask:0xf bank_mask:0xf
	v_add_u32_e32 v2, v2, v4
	s_nop 1
	v_mov_b32_dpp v4, v2 row_bcast:31 row_mask:0xf bank_mask:0xf
	v_add_u32_e32 v2, v2, v4
	ds_bpermute_b32 v2, v3, v2
	s_cbranch_scc0 .LBB35_1
; %bb.2:
	v_mov_b32_e32 v3, s3
	v_add_co_u32_e32 v0, vcc, s2, v0
	v_addc_co_u32_e32 v1, vcc, v3, v1, vcc
	s_waitcnt lgkmcnt(0)
	global_store_dword v[0:1], v2, off
	s_endpgm
	.section	.rodata,"a",@progbits
	.p2align	6, 0x0
	.amdhsa_kernel _Z18warp_reduce_kernelILb1EiLj64ELj100EEvPKT0_PS0_
		.amdhsa_group_segment_fixed_size 0
		.amdhsa_private_segment_fixed_size 0
		.amdhsa_kernarg_size 272
		.amdhsa_user_sgpr_count 6
		.amdhsa_user_sgpr_private_segment_buffer 1
		.amdhsa_user_sgpr_dispatch_ptr 0
		.amdhsa_user_sgpr_queue_ptr 0
		.amdhsa_user_sgpr_kernarg_segment_ptr 1
		.amdhsa_user_sgpr_dispatch_id 0
		.amdhsa_user_sgpr_flat_scratch_init 0
		.amdhsa_user_sgpr_kernarg_preload_length 0
		.amdhsa_user_sgpr_kernarg_preload_offset 0
		.amdhsa_user_sgpr_private_segment_size 0
		.amdhsa_uses_dynamic_stack 0
		.amdhsa_system_sgpr_private_segment_wavefront_offset 0
		.amdhsa_system_sgpr_workgroup_id_x 1
		.amdhsa_system_sgpr_workgroup_id_y 0
		.amdhsa_system_sgpr_workgroup_id_z 0
		.amdhsa_system_sgpr_workgroup_info 0
		.amdhsa_system_vgpr_workitem_id 0
		.amdhsa_next_free_vgpr 5
		.amdhsa_next_free_sgpr 8
		.amdhsa_accum_offset 8
		.amdhsa_reserve_vcc 1
		.amdhsa_reserve_flat_scratch 0
		.amdhsa_float_round_mode_32 0
		.amdhsa_float_round_mode_16_64 0
		.amdhsa_float_denorm_mode_32 3
		.amdhsa_float_denorm_mode_16_64 3
		.amdhsa_dx10_clamp 1
		.amdhsa_ieee_mode 1
		.amdhsa_fp16_overflow 0
		.amdhsa_tg_split 0
		.amdhsa_exception_fp_ieee_invalid_op 0
		.amdhsa_exception_fp_denorm_src 0
		.amdhsa_exception_fp_ieee_div_zero 0
		.amdhsa_exception_fp_ieee_overflow 0
		.amdhsa_exception_fp_ieee_underflow 0
		.amdhsa_exception_fp_ieee_inexact 0
		.amdhsa_exception_int_div_zero 0
	.end_amdhsa_kernel
	.section	.text._Z18warp_reduce_kernelILb1EiLj64ELj100EEvPKT0_PS0_,"axG",@progbits,_Z18warp_reduce_kernelILb1EiLj64ELj100EEvPKT0_PS0_,comdat
.Lfunc_end35:
	.size	_Z18warp_reduce_kernelILb1EiLj64ELj100EEvPKT0_PS0_, .Lfunc_end35-_Z18warp_reduce_kernelILb1EiLj64ELj100EEvPKT0_PS0_
                                        ; -- End function
	.section	.AMDGPU.csdata,"",@progbits
; Kernel info:
; codeLenInByte = 240
; NumSgprs: 12
; NumVgprs: 5
; NumAgprs: 0
; TotalNumVgprs: 5
; ScratchSize: 0
; MemoryBound: 0
; FloatMode: 240
; IeeeMode: 1
; LDSByteSize: 0 bytes/workgroup (compile time only)
; SGPRBlocks: 1
; VGPRBlocks: 0
; NumSGPRsForWavesPerEU: 12
; NumVGPRsForWavesPerEU: 5
; AccumOffset: 8
; Occupancy: 8
; WaveLimiterHint : 0
; COMPUTE_PGM_RSRC2:SCRATCH_EN: 0
; COMPUTE_PGM_RSRC2:USER_SGPR: 6
; COMPUTE_PGM_RSRC2:TRAP_HANDLER: 0
; COMPUTE_PGM_RSRC2:TGID_X_EN: 1
; COMPUTE_PGM_RSRC2:TGID_Y_EN: 0
; COMPUTE_PGM_RSRC2:TGID_Z_EN: 0
; COMPUTE_PGM_RSRC2:TIDIG_COMP_CNT: 0
; COMPUTE_PGM_RSRC3_GFX90A:ACCUM_OFFSET: 1
; COMPUTE_PGM_RSRC3_GFX90A:TG_SPLIT: 0
	.section	.text._Z18warp_reduce_kernelILb1EfLj32ELj100EEvPKT0_PS0_,"axG",@progbits,_Z18warp_reduce_kernelILb1EfLj32ELj100EEvPKT0_PS0_,comdat
	.protected	_Z18warp_reduce_kernelILb1EfLj32ELj100EEvPKT0_PS0_ ; -- Begin function _Z18warp_reduce_kernelILb1EfLj32ELj100EEvPKT0_PS0_
	.globl	_Z18warp_reduce_kernelILb1EfLj32ELj100EEvPKT0_PS0_
	.p2align	8
	.type	_Z18warp_reduce_kernelILb1EfLj32ELj100EEvPKT0_PS0_,@function
_Z18warp_reduce_kernelILb1EfLj32ELj100EEvPKT0_PS0_: ; @_Z18warp_reduce_kernelILb1EfLj32ELj100EEvPKT0_PS0_
; %bb.0:
	s_load_dword s7, s[4:5], 0x1c
	s_load_dwordx4 s[0:3], s[4:5], 0x0
	v_mov_b32_e32 v1, 0
	s_waitcnt lgkmcnt(0)
	s_and_b32 s4, s7, 0xffff
	s_mul_i32 s6, s6, s4
	v_add_u32_e32 v0, s6, v0
	v_lshlrev_b64 v[0:1], 2, v[0:1]
	v_mov_b32_e32 v3, s1
	v_add_co_u32_e32 v2, vcc, s0, v0
	v_addc_co_u32_e32 v3, vcc, v3, v1, vcc
	global_load_dword v2, v[2:3], off
	v_mbcnt_lo_u32_b32 v3, -1, 0
	v_mbcnt_hi_u32_b32 v8, -1, v3
	v_and_b32_e32 v7, 31, v8
	v_cmp_ne_u32_e32 vcc, 31, v7
	v_addc_co_u32_e32 v3, vcc, 0, v8, vcc
	v_cmp_gt_u32_e32 vcc, 30, v7
	v_cndmask_b32_e64 v4, 0, 1, vcc
	v_cmp_gt_u32_e32 vcc, 28, v7
	v_cndmask_b32_e64 v5, 0, 1, vcc
	;; [unrolled: 2-line block ×4, first 2 shown]
	v_lshlrev_b32_e32 v4, 1, v4
	v_lshlrev_b32_e32 v5, 2, v5
	;; [unrolled: 1-line block ×4, first 2 shown]
	v_add_lshl_u32 v4, v4, v8, 2
	v_add_lshl_u32 v5, v5, v8, 2
	;; [unrolled: 1-line block ×4, first 2 shown]
	v_lshlrev_b32_e32 v8, 2, v8
	v_lshlrev_b32_e32 v3, 2, v3
	v_and_b32_e32 v8, 0x180, v8
	s_movk_i32 s0, 0x64
.LBB36_1:                               ; =>This Inner Loop Header: Depth=1
	s_waitcnt vmcnt(0) lgkmcnt(0)
	ds_bpermute_b32 v9, v3, v2
	s_add_i32 s0, s0, -1
	s_cmp_eq_u32 s0, 0
	s_waitcnt lgkmcnt(0)
	v_add_f32_e32 v2, v2, v9
	ds_bpermute_b32 v9, v4, v2
	s_waitcnt lgkmcnt(0)
	v_add_f32_e32 v2, v2, v9
	ds_bpermute_b32 v9, v5, v2
	;; [unrolled: 3-line block ×5, first 2 shown]
	s_cbranch_scc0 .LBB36_1
; %bb.2:
	v_mov_b32_e32 v3, s3
	v_add_co_u32_e32 v0, vcc, s2, v0
	v_addc_co_u32_e32 v1, vcc, v3, v1, vcc
	s_waitcnt lgkmcnt(0)
	global_store_dword v[0:1], v2, off
	s_endpgm
	.section	.rodata,"a",@progbits
	.p2align	6, 0x0
	.amdhsa_kernel _Z18warp_reduce_kernelILb1EfLj32ELj100EEvPKT0_PS0_
		.amdhsa_group_segment_fixed_size 0
		.amdhsa_private_segment_fixed_size 0
		.amdhsa_kernarg_size 272
		.amdhsa_user_sgpr_count 6
		.amdhsa_user_sgpr_private_segment_buffer 1
		.amdhsa_user_sgpr_dispatch_ptr 0
		.amdhsa_user_sgpr_queue_ptr 0
		.amdhsa_user_sgpr_kernarg_segment_ptr 1
		.amdhsa_user_sgpr_dispatch_id 0
		.amdhsa_user_sgpr_flat_scratch_init 0
		.amdhsa_user_sgpr_kernarg_preload_length 0
		.amdhsa_user_sgpr_kernarg_preload_offset 0
		.amdhsa_user_sgpr_private_segment_size 0
		.amdhsa_uses_dynamic_stack 0
		.amdhsa_system_sgpr_private_segment_wavefront_offset 0
		.amdhsa_system_sgpr_workgroup_id_x 1
		.amdhsa_system_sgpr_workgroup_id_y 0
		.amdhsa_system_sgpr_workgroup_id_z 0
		.amdhsa_system_sgpr_workgroup_info 0
		.amdhsa_system_vgpr_workitem_id 0
		.amdhsa_next_free_vgpr 10
		.amdhsa_next_free_sgpr 8
		.amdhsa_accum_offset 12
		.amdhsa_reserve_vcc 1
		.amdhsa_reserve_flat_scratch 0
		.amdhsa_float_round_mode_32 0
		.amdhsa_float_round_mode_16_64 0
		.amdhsa_float_denorm_mode_32 3
		.amdhsa_float_denorm_mode_16_64 3
		.amdhsa_dx10_clamp 1
		.amdhsa_ieee_mode 1
		.amdhsa_fp16_overflow 0
		.amdhsa_tg_split 0
		.amdhsa_exception_fp_ieee_invalid_op 0
		.amdhsa_exception_fp_denorm_src 0
		.amdhsa_exception_fp_ieee_div_zero 0
		.amdhsa_exception_fp_ieee_overflow 0
		.amdhsa_exception_fp_ieee_underflow 0
		.amdhsa_exception_fp_ieee_inexact 0
		.amdhsa_exception_int_div_zero 0
	.end_amdhsa_kernel
	.section	.text._Z18warp_reduce_kernelILb1EfLj32ELj100EEvPKT0_PS0_,"axG",@progbits,_Z18warp_reduce_kernelILb1EfLj32ELj100EEvPKT0_PS0_,comdat
.Lfunc_end36:
	.size	_Z18warp_reduce_kernelILb1EfLj32ELj100EEvPKT0_PS0_, .Lfunc_end36-_Z18warp_reduce_kernelILb1EfLj32ELj100EEvPKT0_PS0_
                                        ; -- End function
	.section	.AMDGPU.csdata,"",@progbits
; Kernel info:
; codeLenInByte = 344
; NumSgprs: 12
; NumVgprs: 10
; NumAgprs: 0
; TotalNumVgprs: 10
; ScratchSize: 0
; MemoryBound: 0
; FloatMode: 240
; IeeeMode: 1
; LDSByteSize: 0 bytes/workgroup (compile time only)
; SGPRBlocks: 1
; VGPRBlocks: 1
; NumSGPRsForWavesPerEU: 12
; NumVGPRsForWavesPerEU: 10
; AccumOffset: 12
; Occupancy: 8
; WaveLimiterHint : 0
; COMPUTE_PGM_RSRC2:SCRATCH_EN: 0
; COMPUTE_PGM_RSRC2:USER_SGPR: 6
; COMPUTE_PGM_RSRC2:TRAP_HANDLER: 0
; COMPUTE_PGM_RSRC2:TGID_X_EN: 1
; COMPUTE_PGM_RSRC2:TGID_Y_EN: 0
; COMPUTE_PGM_RSRC2:TGID_Z_EN: 0
; COMPUTE_PGM_RSRC2:TIDIG_COMP_CNT: 0
; COMPUTE_PGM_RSRC3_GFX90A:ACCUM_OFFSET: 2
; COMPUTE_PGM_RSRC3_GFX90A:TG_SPLIT: 0
	.section	.text._Z18warp_reduce_kernelILb1EfLj37ELj100EEvPKT0_PS0_,"axG",@progbits,_Z18warp_reduce_kernelILb1EfLj37ELj100EEvPKT0_PS0_,comdat
	.protected	_Z18warp_reduce_kernelILb1EfLj37ELj100EEvPKT0_PS0_ ; -- Begin function _Z18warp_reduce_kernelILb1EfLj37ELj100EEvPKT0_PS0_
	.globl	_Z18warp_reduce_kernelILb1EfLj37ELj100EEvPKT0_PS0_
	.p2align	8
	.type	_Z18warp_reduce_kernelILb1EfLj37ELj100EEvPKT0_PS0_,@function
_Z18warp_reduce_kernelILb1EfLj37ELj100EEvPKT0_PS0_: ; @_Z18warp_reduce_kernelILb1EfLj37ELj100EEvPKT0_PS0_
; %bb.0:
	s_load_dword s0, s[4:5], 0x1c
	s_load_dwordx4 s[8:11], s[4:5], 0x0
	v_mov_b32_e32 v1, 0
	s_movk_i32 s14, 0x64
	s_waitcnt lgkmcnt(0)
	s_and_b32 s0, s0, 0xffff
	s_mul_i32 s6, s6, s0
	v_add_u32_e32 v0, s6, v0
	v_lshlrev_b64 v[2:3], 2, v[0:1]
	v_mov_b32_e32 v0, s9
	v_add_co_u32_e32 v4, vcc, s8, v2
	v_addc_co_u32_e32 v5, vcc, v0, v3, vcc
	global_load_dword v4, v[4:5], off
	v_mbcnt_lo_u32_b32 v0, -1, 0
	v_mbcnt_hi_u32_b32 v0, -1, v0
	s_mov_b32 s0, 0x6eb3e46
	v_mul_hi_u32 v5, v0, s0
	v_mul_u32_u24_e32 v5, 37, v5
	v_sub_u32_e32 v5, v0, v5
	v_lshlrev_b32_e32 v0, 2, v5
	v_cmp_gt_u32_e32 vcc, 5, v5
	v_cmp_gt_u32_e64 s[0:1], 16, v5
	v_cmp_gt_u32_e64 s[2:3], 8, v5
	;; [unrolled: 1-line block ×4, first 2 shown]
	v_cmp_eq_u32_e64 s[8:9], 0, v5
	s_branch .LBB37_2
.LBB37_1:                               ;   in Loop: Header=BB37_2 Depth=1
	s_or_b64 exec, exec, s[12:13]
	; wave barrier
	ds_read_b32 v4, v1
	s_add_i32 s14, s14, -1
	s_cmp_eq_u32 s14, 0
	s_cbranch_scc1 .LBB37_26
.LBB37_2:                               ; =>This Inner Loop Header: Depth=1
	s_waitcnt vmcnt(0) lgkmcnt(0)
	ds_write_b32 v0, v4
	; wave barrier
	s_and_saveexec_b64 s[12:13], vcc
	s_cbranch_execz .LBB37_4
; %bb.3:                                ;   in Loop: Header=BB37_2 Depth=1
	ds_read2_b32 v[4:5], v0 offset1:32
	s_waitcnt lgkmcnt(0)
	v_add_f32_e32 v4, v4, v5
.LBB37_4:                               ;   in Loop: Header=BB37_2 Depth=1
	s_or_b64 exec, exec, s[12:13]
	; wave barrier
	s_and_saveexec_b64 s[12:13], vcc
	s_cbranch_execz .LBB37_6
; %bb.5:                                ;   in Loop: Header=BB37_2 Depth=1
	ds_write_b32 v0, v4
.LBB37_6:                               ;   in Loop: Header=BB37_2 Depth=1
	s_or_b64 exec, exec, s[12:13]
	; wave barrier
	s_and_saveexec_b64 s[12:13], s[0:1]
	s_cbranch_execz .LBB37_8
; %bb.7:                                ;   in Loop: Header=BB37_2 Depth=1
	ds_read2_b32 v[4:5], v0 offset1:16
	s_waitcnt lgkmcnt(0)
	v_add_f32_e32 v4, v4, v5
.LBB37_8:                               ;   in Loop: Header=BB37_2 Depth=1
	s_or_b64 exec, exec, s[12:13]
	; wave barrier
	s_and_saveexec_b64 s[12:13], s[0:1]
	s_cbranch_execz .LBB37_10
; %bb.9:                                ;   in Loop: Header=BB37_2 Depth=1
	ds_write_b32 v0, v4
.LBB37_10:                              ;   in Loop: Header=BB37_2 Depth=1
	s_or_b64 exec, exec, s[12:13]
	; wave barrier
	s_and_saveexec_b64 s[12:13], s[2:3]
	s_cbranch_execz .LBB37_12
; %bb.11:                               ;   in Loop: Header=BB37_2 Depth=1
	ds_read2_b32 v[4:5], v0 offset1:8
	s_waitcnt lgkmcnt(0)
	v_add_f32_e32 v4, v4, v5
.LBB37_12:                              ;   in Loop: Header=BB37_2 Depth=1
	s_or_b64 exec, exec, s[12:13]
	; wave barrier
	s_and_saveexec_b64 s[12:13], s[2:3]
	s_cbranch_execz .LBB37_14
; %bb.13:                               ;   in Loop: Header=BB37_2 Depth=1
	ds_write_b32 v0, v4
.LBB37_14:                              ;   in Loop: Header=BB37_2 Depth=1
	s_or_b64 exec, exec, s[12:13]
	; wave barrier
	s_and_saveexec_b64 s[12:13], s[4:5]
	s_cbranch_execz .LBB37_16
; %bb.15:                               ;   in Loop: Header=BB37_2 Depth=1
	ds_read2_b32 v[4:5], v0 offset1:4
	s_waitcnt lgkmcnt(0)
	v_add_f32_e32 v4, v4, v5
.LBB37_16:                              ;   in Loop: Header=BB37_2 Depth=1
	s_or_b64 exec, exec, s[12:13]
	; wave barrier
	s_and_saveexec_b64 s[12:13], s[4:5]
	s_cbranch_execz .LBB37_18
; %bb.17:                               ;   in Loop: Header=BB37_2 Depth=1
	ds_write_b32 v0, v4
.LBB37_18:                              ;   in Loop: Header=BB37_2 Depth=1
	;; [unrolled: 16-line block ×3, first 2 shown]
	s_or_b64 exec, exec, s[12:13]
	; wave barrier
	s_and_saveexec_b64 s[12:13], s[8:9]
	s_cbranch_execz .LBB37_24
; %bb.23:                               ;   in Loop: Header=BB37_2 Depth=1
	ds_read_b32 v4, v0
	ds_read_b32 v5, v1 offset:4
	s_waitcnt lgkmcnt(0)
	v_add_f32_e32 v4, v4, v5
.LBB37_24:                              ;   in Loop: Header=BB37_2 Depth=1
	s_or_b64 exec, exec, s[12:13]
	; wave barrier
	s_and_saveexec_b64 s[12:13], s[8:9]
	s_cbranch_execz .LBB37_1
; %bb.25:                               ;   in Loop: Header=BB37_2 Depth=1
	ds_write_b32 v0, v4
	s_branch .LBB37_1
.LBB37_26:
	v_mov_b32_e32 v1, s11
	v_add_co_u32_e32 v0, vcc, s10, v2
	v_addc_co_u32_e32 v1, vcc, v1, v3, vcc
	s_waitcnt lgkmcnt(0)
	global_store_dword v[0:1], v4, off
	s_endpgm
	.section	.rodata,"a",@progbits
	.p2align	6, 0x0
	.amdhsa_kernel _Z18warp_reduce_kernelILb1EfLj37ELj100EEvPKT0_PS0_
		.amdhsa_group_segment_fixed_size 148
		.amdhsa_private_segment_fixed_size 0
		.amdhsa_kernarg_size 272
		.amdhsa_user_sgpr_count 6
		.amdhsa_user_sgpr_private_segment_buffer 1
		.amdhsa_user_sgpr_dispatch_ptr 0
		.amdhsa_user_sgpr_queue_ptr 0
		.amdhsa_user_sgpr_kernarg_segment_ptr 1
		.amdhsa_user_sgpr_dispatch_id 0
		.amdhsa_user_sgpr_flat_scratch_init 0
		.amdhsa_user_sgpr_kernarg_preload_length 0
		.amdhsa_user_sgpr_kernarg_preload_offset 0
		.amdhsa_user_sgpr_private_segment_size 0
		.amdhsa_uses_dynamic_stack 0
		.amdhsa_system_sgpr_private_segment_wavefront_offset 0
		.amdhsa_system_sgpr_workgroup_id_x 1
		.amdhsa_system_sgpr_workgroup_id_y 0
		.amdhsa_system_sgpr_workgroup_id_z 0
		.amdhsa_system_sgpr_workgroup_info 0
		.amdhsa_system_vgpr_workitem_id 0
		.amdhsa_next_free_vgpr 6
		.amdhsa_next_free_sgpr 15
		.amdhsa_accum_offset 8
		.amdhsa_reserve_vcc 1
		.amdhsa_reserve_flat_scratch 0
		.amdhsa_float_round_mode_32 0
		.amdhsa_float_round_mode_16_64 0
		.amdhsa_float_denorm_mode_32 3
		.amdhsa_float_denorm_mode_16_64 3
		.amdhsa_dx10_clamp 1
		.amdhsa_ieee_mode 1
		.amdhsa_fp16_overflow 0
		.amdhsa_tg_split 0
		.amdhsa_exception_fp_ieee_invalid_op 0
		.amdhsa_exception_fp_denorm_src 0
		.amdhsa_exception_fp_ieee_div_zero 0
		.amdhsa_exception_fp_ieee_overflow 0
		.amdhsa_exception_fp_ieee_underflow 0
		.amdhsa_exception_fp_ieee_inexact 0
		.amdhsa_exception_int_div_zero 0
	.end_amdhsa_kernel
	.section	.text._Z18warp_reduce_kernelILb1EfLj37ELj100EEvPKT0_PS0_,"axG",@progbits,_Z18warp_reduce_kernelILb1EfLj37ELj100EEvPKT0_PS0_,comdat
.Lfunc_end37:
	.size	_Z18warp_reduce_kernelILb1EfLj37ELj100EEvPKT0_PS0_, .Lfunc_end37-_Z18warp_reduce_kernelILb1EfLj37ELj100EEvPKT0_PS0_
                                        ; -- End function
	.section	.AMDGPU.csdata,"",@progbits
; Kernel info:
; codeLenInByte = 524
; NumSgprs: 19
; NumVgprs: 6
; NumAgprs: 0
; TotalNumVgprs: 6
; ScratchSize: 0
; MemoryBound: 0
; FloatMode: 240
; IeeeMode: 1
; LDSByteSize: 148 bytes/workgroup (compile time only)
; SGPRBlocks: 2
; VGPRBlocks: 0
; NumSGPRsForWavesPerEU: 19
; NumVGPRsForWavesPerEU: 6
; AccumOffset: 8
; Occupancy: 8
; WaveLimiterHint : 0
; COMPUTE_PGM_RSRC2:SCRATCH_EN: 0
; COMPUTE_PGM_RSRC2:USER_SGPR: 6
; COMPUTE_PGM_RSRC2:TRAP_HANDLER: 0
; COMPUTE_PGM_RSRC2:TGID_X_EN: 1
; COMPUTE_PGM_RSRC2:TGID_Y_EN: 0
; COMPUTE_PGM_RSRC2:TGID_Z_EN: 0
; COMPUTE_PGM_RSRC2:TIDIG_COMP_CNT: 0
; COMPUTE_PGM_RSRC3_GFX90A:ACCUM_OFFSET: 1
; COMPUTE_PGM_RSRC3_GFX90A:TG_SPLIT: 0
	.section	.text._Z18warp_reduce_kernelILb1EfLj61ELj100EEvPKT0_PS0_,"axG",@progbits,_Z18warp_reduce_kernelILb1EfLj61ELj100EEvPKT0_PS0_,comdat
	.protected	_Z18warp_reduce_kernelILb1EfLj61ELj100EEvPKT0_PS0_ ; -- Begin function _Z18warp_reduce_kernelILb1EfLj61ELj100EEvPKT0_PS0_
	.globl	_Z18warp_reduce_kernelILb1EfLj61ELj100EEvPKT0_PS0_
	.p2align	8
	.type	_Z18warp_reduce_kernelILb1EfLj61ELj100EEvPKT0_PS0_,@function
_Z18warp_reduce_kernelILb1EfLj61ELj100EEvPKT0_PS0_: ; @_Z18warp_reduce_kernelILb1EfLj61ELj100EEvPKT0_PS0_
; %bb.0:
	s_load_dword s0, s[4:5], 0x1c
	s_load_dwordx4 s[8:11], s[4:5], 0x0
	v_mov_b32_e32 v1, 0
	s_movk_i32 s14, 0x64
	s_waitcnt lgkmcnt(0)
	s_and_b32 s0, s0, 0xffff
	s_mul_i32 s6, s6, s0
	v_add_u32_e32 v0, s6, v0
	v_lshlrev_b64 v[2:3], 2, v[0:1]
	v_mov_b32_e32 v0, s9
	v_add_co_u32_e32 v4, vcc, s8, v2
	v_addc_co_u32_e32 v5, vcc, v0, v3, vcc
	global_load_dword v4, v[4:5], off
	v_mbcnt_lo_u32_b32 v0, -1, 0
	v_mbcnt_hi_u32_b32 v0, -1, v0
	s_mov_b32 s0, 0x4325c54
	v_mul_hi_u32 v5, v0, s0
	v_mul_u32_u24_e32 v5, 61, v5
	v_sub_u32_e32 v5, v0, v5
	v_lshlrev_b32_e32 v0, 2, v5
	v_cmp_gt_u32_e32 vcc, 29, v5
	v_cmp_gt_u32_e64 s[0:1], 16, v5
	v_cmp_gt_u32_e64 s[2:3], 8, v5
	;; [unrolled: 1-line block ×4, first 2 shown]
	v_cmp_eq_u32_e64 s[8:9], 0, v5
	s_branch .LBB38_2
.LBB38_1:                               ;   in Loop: Header=BB38_2 Depth=1
	s_or_b64 exec, exec, s[12:13]
	; wave barrier
	ds_read_b32 v4, v1
	s_add_i32 s14, s14, -1
	s_cmp_eq_u32 s14, 0
	s_cbranch_scc1 .LBB38_26
.LBB38_2:                               ; =>This Inner Loop Header: Depth=1
	s_waitcnt vmcnt(0) lgkmcnt(0)
	ds_write_b32 v0, v4
	; wave barrier
	s_and_saveexec_b64 s[12:13], vcc
	s_cbranch_execz .LBB38_4
; %bb.3:                                ;   in Loop: Header=BB38_2 Depth=1
	ds_read2_b32 v[4:5], v0 offset1:32
	s_waitcnt lgkmcnt(0)
	v_add_f32_e32 v4, v4, v5
.LBB38_4:                               ;   in Loop: Header=BB38_2 Depth=1
	s_or_b64 exec, exec, s[12:13]
	; wave barrier
	s_and_saveexec_b64 s[12:13], vcc
	s_cbranch_execz .LBB38_6
; %bb.5:                                ;   in Loop: Header=BB38_2 Depth=1
	ds_write_b32 v0, v4
.LBB38_6:                               ;   in Loop: Header=BB38_2 Depth=1
	s_or_b64 exec, exec, s[12:13]
	; wave barrier
	s_and_saveexec_b64 s[12:13], s[0:1]
	s_cbranch_execz .LBB38_8
; %bb.7:                                ;   in Loop: Header=BB38_2 Depth=1
	ds_read2_b32 v[4:5], v0 offset1:16
	s_waitcnt lgkmcnt(0)
	v_add_f32_e32 v4, v4, v5
.LBB38_8:                               ;   in Loop: Header=BB38_2 Depth=1
	s_or_b64 exec, exec, s[12:13]
	; wave barrier
	s_and_saveexec_b64 s[12:13], s[0:1]
	s_cbranch_execz .LBB38_10
; %bb.9:                                ;   in Loop: Header=BB38_2 Depth=1
	ds_write_b32 v0, v4
.LBB38_10:                              ;   in Loop: Header=BB38_2 Depth=1
	s_or_b64 exec, exec, s[12:13]
	; wave barrier
	s_and_saveexec_b64 s[12:13], s[2:3]
	s_cbranch_execz .LBB38_12
; %bb.11:                               ;   in Loop: Header=BB38_2 Depth=1
	ds_read2_b32 v[4:5], v0 offset1:8
	s_waitcnt lgkmcnt(0)
	v_add_f32_e32 v4, v4, v5
.LBB38_12:                              ;   in Loop: Header=BB38_2 Depth=1
	s_or_b64 exec, exec, s[12:13]
	; wave barrier
	s_and_saveexec_b64 s[12:13], s[2:3]
	s_cbranch_execz .LBB38_14
; %bb.13:                               ;   in Loop: Header=BB38_2 Depth=1
	ds_write_b32 v0, v4
.LBB38_14:                              ;   in Loop: Header=BB38_2 Depth=1
	s_or_b64 exec, exec, s[12:13]
	; wave barrier
	s_and_saveexec_b64 s[12:13], s[4:5]
	s_cbranch_execz .LBB38_16
; %bb.15:                               ;   in Loop: Header=BB38_2 Depth=1
	ds_read2_b32 v[4:5], v0 offset1:4
	s_waitcnt lgkmcnt(0)
	v_add_f32_e32 v4, v4, v5
.LBB38_16:                              ;   in Loop: Header=BB38_2 Depth=1
	s_or_b64 exec, exec, s[12:13]
	; wave barrier
	s_and_saveexec_b64 s[12:13], s[4:5]
	s_cbranch_execz .LBB38_18
; %bb.17:                               ;   in Loop: Header=BB38_2 Depth=1
	ds_write_b32 v0, v4
.LBB38_18:                              ;   in Loop: Header=BB38_2 Depth=1
	s_or_b64 exec, exec, s[12:13]
	; wave barrier
	s_and_saveexec_b64 s[12:13], s[6:7]
	s_cbranch_execz .LBB38_20
; %bb.19:                               ;   in Loop: Header=BB38_2 Depth=1
	ds_read2_b32 v[4:5], v0 offset1:2
	s_waitcnt lgkmcnt(0)
	v_add_f32_e32 v4, v4, v5
.LBB38_20:                              ;   in Loop: Header=BB38_2 Depth=1
	s_or_b64 exec, exec, s[12:13]
	; wave barrier
	s_and_saveexec_b64 s[12:13], s[6:7]
	s_cbranch_execz .LBB38_22
; %bb.21:                               ;   in Loop: Header=BB38_2 Depth=1
	ds_write_b32 v0, v4
.LBB38_22:                              ;   in Loop: Header=BB38_2 Depth=1
	s_or_b64 exec, exec, s[12:13]
	; wave barrier
	s_and_saveexec_b64 s[12:13], s[8:9]
	s_cbranch_execz .LBB38_24
; %bb.23:                               ;   in Loop: Header=BB38_2 Depth=1
	ds_read_b32 v4, v0
	ds_read_b32 v5, v1 offset:4
	s_waitcnt lgkmcnt(0)
	v_add_f32_e32 v4, v4, v5
.LBB38_24:                              ;   in Loop: Header=BB38_2 Depth=1
	s_or_b64 exec, exec, s[12:13]
	; wave barrier
	s_and_saveexec_b64 s[12:13], s[8:9]
	s_cbranch_execz .LBB38_1
; %bb.25:                               ;   in Loop: Header=BB38_2 Depth=1
	ds_write_b32 v0, v4
	s_branch .LBB38_1
.LBB38_26:
	v_mov_b32_e32 v1, s11
	v_add_co_u32_e32 v0, vcc, s10, v2
	v_addc_co_u32_e32 v1, vcc, v1, v3, vcc
	s_waitcnt lgkmcnt(0)
	global_store_dword v[0:1], v4, off
	s_endpgm
	.section	.rodata,"a",@progbits
	.p2align	6, 0x0
	.amdhsa_kernel _Z18warp_reduce_kernelILb1EfLj61ELj100EEvPKT0_PS0_
		.amdhsa_group_segment_fixed_size 244
		.amdhsa_private_segment_fixed_size 0
		.amdhsa_kernarg_size 272
		.amdhsa_user_sgpr_count 6
		.amdhsa_user_sgpr_private_segment_buffer 1
		.amdhsa_user_sgpr_dispatch_ptr 0
		.amdhsa_user_sgpr_queue_ptr 0
		.amdhsa_user_sgpr_kernarg_segment_ptr 1
		.amdhsa_user_sgpr_dispatch_id 0
		.amdhsa_user_sgpr_flat_scratch_init 0
		.amdhsa_user_sgpr_kernarg_preload_length 0
		.amdhsa_user_sgpr_kernarg_preload_offset 0
		.amdhsa_user_sgpr_private_segment_size 0
		.amdhsa_uses_dynamic_stack 0
		.amdhsa_system_sgpr_private_segment_wavefront_offset 0
		.amdhsa_system_sgpr_workgroup_id_x 1
		.amdhsa_system_sgpr_workgroup_id_y 0
		.amdhsa_system_sgpr_workgroup_id_z 0
		.amdhsa_system_sgpr_workgroup_info 0
		.amdhsa_system_vgpr_workitem_id 0
		.amdhsa_next_free_vgpr 6
		.amdhsa_next_free_sgpr 15
		.amdhsa_accum_offset 8
		.amdhsa_reserve_vcc 1
		.amdhsa_reserve_flat_scratch 0
		.amdhsa_float_round_mode_32 0
		.amdhsa_float_round_mode_16_64 0
		.amdhsa_float_denorm_mode_32 3
		.amdhsa_float_denorm_mode_16_64 3
		.amdhsa_dx10_clamp 1
		.amdhsa_ieee_mode 1
		.amdhsa_fp16_overflow 0
		.amdhsa_tg_split 0
		.amdhsa_exception_fp_ieee_invalid_op 0
		.amdhsa_exception_fp_denorm_src 0
		.amdhsa_exception_fp_ieee_div_zero 0
		.amdhsa_exception_fp_ieee_overflow 0
		.amdhsa_exception_fp_ieee_underflow 0
		.amdhsa_exception_fp_ieee_inexact 0
		.amdhsa_exception_int_div_zero 0
	.end_amdhsa_kernel
	.section	.text._Z18warp_reduce_kernelILb1EfLj61ELj100EEvPKT0_PS0_,"axG",@progbits,_Z18warp_reduce_kernelILb1EfLj61ELj100EEvPKT0_PS0_,comdat
.Lfunc_end38:
	.size	_Z18warp_reduce_kernelILb1EfLj61ELj100EEvPKT0_PS0_, .Lfunc_end38-_Z18warp_reduce_kernelILb1EfLj61ELj100EEvPKT0_PS0_
                                        ; -- End function
	.section	.AMDGPU.csdata,"",@progbits
; Kernel info:
; codeLenInByte = 524
; NumSgprs: 19
; NumVgprs: 6
; NumAgprs: 0
; TotalNumVgprs: 6
; ScratchSize: 0
; MemoryBound: 0
; FloatMode: 240
; IeeeMode: 1
; LDSByteSize: 244 bytes/workgroup (compile time only)
; SGPRBlocks: 2
; VGPRBlocks: 0
; NumSGPRsForWavesPerEU: 19
; NumVGPRsForWavesPerEU: 6
; AccumOffset: 8
; Occupancy: 8
; WaveLimiterHint : 0
; COMPUTE_PGM_RSRC2:SCRATCH_EN: 0
; COMPUTE_PGM_RSRC2:USER_SGPR: 6
; COMPUTE_PGM_RSRC2:TRAP_HANDLER: 0
; COMPUTE_PGM_RSRC2:TGID_X_EN: 1
; COMPUTE_PGM_RSRC2:TGID_Y_EN: 0
; COMPUTE_PGM_RSRC2:TGID_Z_EN: 0
; COMPUTE_PGM_RSRC2:TIDIG_COMP_CNT: 0
; COMPUTE_PGM_RSRC3_GFX90A:ACCUM_OFFSET: 1
; COMPUTE_PGM_RSRC3_GFX90A:TG_SPLIT: 0
	.section	.text._Z18warp_reduce_kernelILb1EfLj64ELj100EEvPKT0_PS0_,"axG",@progbits,_Z18warp_reduce_kernelILb1EfLj64ELj100EEvPKT0_PS0_,comdat
	.protected	_Z18warp_reduce_kernelILb1EfLj64ELj100EEvPKT0_PS0_ ; -- Begin function _Z18warp_reduce_kernelILb1EfLj64ELj100EEvPKT0_PS0_
	.globl	_Z18warp_reduce_kernelILb1EfLj64ELj100EEvPKT0_PS0_
	.p2align	8
	.type	_Z18warp_reduce_kernelILb1EfLj64ELj100EEvPKT0_PS0_,@function
_Z18warp_reduce_kernelILb1EfLj64ELj100EEvPKT0_PS0_: ; @_Z18warp_reduce_kernelILb1EfLj64ELj100EEvPKT0_PS0_
; %bb.0:
	s_load_dword s7, s[4:5], 0x1c
	s_load_dwordx4 s[0:3], s[4:5], 0x0
	v_mov_b32_e32 v1, 0
	v_bfrev_b32_e32 v4, 0.5
	s_waitcnt lgkmcnt(0)
	s_and_b32 s4, s7, 0xffff
	s_mul_i32 s6, s6, s4
	v_add_u32_e32 v0, s6, v0
	v_lshlrev_b64 v[0:1], 2, v[0:1]
	v_mov_b32_e32 v3, s1
	v_add_co_u32_e32 v2, vcc, s0, v0
	v_addc_co_u32_e32 v3, vcc, v3, v1, vcc
	global_load_dword v2, v[2:3], off
	v_mbcnt_lo_u32_b32 v3, -1, 0
	v_mbcnt_hi_u32_b32 v3, -1, v3
	v_lshl_or_b32 v3, v3, 2, v4
	s_movk_i32 s0, 0x64
.LBB39_1:                               ; =>This Inner Loop Header: Depth=1
	s_waitcnt vmcnt(0) lgkmcnt(0)
	v_mov_b32_dpp v4, v2 quad_perm:[1,0,3,2] row_mask:0xf bank_mask:0xf
	v_add_f32_e32 v2, v2, v4
	s_add_i32 s0, s0, -1
	s_cmp_eq_u32 s0, 0
	v_mov_b32_dpp v4, v2 quad_perm:[2,3,0,1] row_mask:0xf bank_mask:0xf
	v_add_f32_e32 v2, v2, v4
	s_nop 1
	v_mov_b32_dpp v4, v2 row_ror:4 row_mask:0xf bank_mask:0xf
	v_add_f32_e32 v2, v2, v4
	s_nop 1
	v_mov_b32_dpp v4, v2 row_ror:8 row_mask:0xf bank_mask:0xf
	v_add_f32_e32 v2, v2, v4
	s_nop 1
	v_mov_b32_dpp v4, v2 row_bcast:15 row_mask:0xf bank_mask:0xf
	v_add_f32_e32 v2, v2, v4
	s_nop 1
	v_mov_b32_dpp v4, v2 row_bcast:31 row_mask:0xf bank_mask:0xf
	v_add_f32_e32 v2, v2, v4
	ds_bpermute_b32 v2, v3, v2
	s_cbranch_scc0 .LBB39_1
; %bb.2:
	v_mov_b32_e32 v3, s3
	v_add_co_u32_e32 v0, vcc, s2, v0
	v_addc_co_u32_e32 v1, vcc, v3, v1, vcc
	s_waitcnt lgkmcnt(0)
	global_store_dword v[0:1], v2, off
	s_endpgm
	.section	.rodata,"a",@progbits
	.p2align	6, 0x0
	.amdhsa_kernel _Z18warp_reduce_kernelILb1EfLj64ELj100EEvPKT0_PS0_
		.amdhsa_group_segment_fixed_size 0
		.amdhsa_private_segment_fixed_size 0
		.amdhsa_kernarg_size 272
		.amdhsa_user_sgpr_count 6
		.amdhsa_user_sgpr_private_segment_buffer 1
		.amdhsa_user_sgpr_dispatch_ptr 0
		.amdhsa_user_sgpr_queue_ptr 0
		.amdhsa_user_sgpr_kernarg_segment_ptr 1
		.amdhsa_user_sgpr_dispatch_id 0
		.amdhsa_user_sgpr_flat_scratch_init 0
		.amdhsa_user_sgpr_kernarg_preload_length 0
		.amdhsa_user_sgpr_kernarg_preload_offset 0
		.amdhsa_user_sgpr_private_segment_size 0
		.amdhsa_uses_dynamic_stack 0
		.amdhsa_system_sgpr_private_segment_wavefront_offset 0
		.amdhsa_system_sgpr_workgroup_id_x 1
		.amdhsa_system_sgpr_workgroup_id_y 0
		.amdhsa_system_sgpr_workgroup_id_z 0
		.amdhsa_system_sgpr_workgroup_info 0
		.amdhsa_system_vgpr_workitem_id 0
		.amdhsa_next_free_vgpr 5
		.amdhsa_next_free_sgpr 8
		.amdhsa_accum_offset 8
		.amdhsa_reserve_vcc 1
		.amdhsa_reserve_flat_scratch 0
		.amdhsa_float_round_mode_32 0
		.amdhsa_float_round_mode_16_64 0
		.amdhsa_float_denorm_mode_32 3
		.amdhsa_float_denorm_mode_16_64 3
		.amdhsa_dx10_clamp 1
		.amdhsa_ieee_mode 1
		.amdhsa_fp16_overflow 0
		.amdhsa_tg_split 0
		.amdhsa_exception_fp_ieee_invalid_op 0
		.amdhsa_exception_fp_denorm_src 0
		.amdhsa_exception_fp_ieee_div_zero 0
		.amdhsa_exception_fp_ieee_overflow 0
		.amdhsa_exception_fp_ieee_underflow 0
		.amdhsa_exception_fp_ieee_inexact 0
		.amdhsa_exception_int_div_zero 0
	.end_amdhsa_kernel
	.section	.text._Z18warp_reduce_kernelILb1EfLj64ELj100EEvPKT0_PS0_,"axG",@progbits,_Z18warp_reduce_kernelILb1EfLj64ELj100EEvPKT0_PS0_,comdat
.Lfunc_end39:
	.size	_Z18warp_reduce_kernelILb1EfLj64ELj100EEvPKT0_PS0_, .Lfunc_end39-_Z18warp_reduce_kernelILb1EfLj64ELj100EEvPKT0_PS0_
                                        ; -- End function
	.section	.AMDGPU.csdata,"",@progbits
; Kernel info:
; codeLenInByte = 240
; NumSgprs: 12
; NumVgprs: 5
; NumAgprs: 0
; TotalNumVgprs: 5
; ScratchSize: 0
; MemoryBound: 0
; FloatMode: 240
; IeeeMode: 1
; LDSByteSize: 0 bytes/workgroup (compile time only)
; SGPRBlocks: 1
; VGPRBlocks: 0
; NumSGPRsForWavesPerEU: 12
; NumVGPRsForWavesPerEU: 5
; AccumOffset: 8
; Occupancy: 8
; WaveLimiterHint : 0
; COMPUTE_PGM_RSRC2:SCRATCH_EN: 0
; COMPUTE_PGM_RSRC2:USER_SGPR: 6
; COMPUTE_PGM_RSRC2:TRAP_HANDLER: 0
; COMPUTE_PGM_RSRC2:TGID_X_EN: 1
; COMPUTE_PGM_RSRC2:TGID_Y_EN: 0
; COMPUTE_PGM_RSRC2:TGID_Z_EN: 0
; COMPUTE_PGM_RSRC2:TIDIG_COMP_CNT: 0
; COMPUTE_PGM_RSRC3_GFX90A:ACCUM_OFFSET: 1
; COMPUTE_PGM_RSRC3_GFX90A:TG_SPLIT: 0
	.section	.text._Z18warp_reduce_kernelILb1EdLj32ELj100EEvPKT0_PS0_,"axG",@progbits,_Z18warp_reduce_kernelILb1EdLj32ELj100EEvPKT0_PS0_,comdat
	.protected	_Z18warp_reduce_kernelILb1EdLj32ELj100EEvPKT0_PS0_ ; -- Begin function _Z18warp_reduce_kernelILb1EdLj32ELj100EEvPKT0_PS0_
	.globl	_Z18warp_reduce_kernelILb1EdLj32ELj100EEvPKT0_PS0_
	.p2align	8
	.type	_Z18warp_reduce_kernelILb1EdLj32ELj100EEvPKT0_PS0_,@function
_Z18warp_reduce_kernelILb1EdLj32ELj100EEvPKT0_PS0_: ; @_Z18warp_reduce_kernelILb1EdLj32ELj100EEvPKT0_PS0_
; %bb.0:
	s_load_dword s7, s[4:5], 0x1c
	s_load_dwordx4 s[0:3], s[4:5], 0x0
	v_mov_b32_e32 v1, 0
	v_mbcnt_lo_u32_b32 v4, -1, 0
	v_mbcnt_hi_u32_b32 v9, -1, v4
	s_waitcnt lgkmcnt(0)
	s_and_b32 s4, s7, 0xffff
	s_mul_i32 s6, s6, s4
	v_add_u32_e32 v0, s6, v0
	v_lshlrev_b64 v[0:1], 3, v[0:1]
	v_mov_b32_e32 v3, s1
	v_add_co_u32_e32 v2, vcc, s0, v0
	v_addc_co_u32_e32 v3, vcc, v3, v1, vcc
	global_load_dwordx2 v[2:3], v[2:3], off
	v_and_b32_e32 v8, 31, v9
	v_cmp_ne_u32_e32 vcc, 31, v8
	v_addc_co_u32_e32 v4, vcc, 0, v9, vcc
	v_cmp_gt_u32_e32 vcc, 30, v8
	v_cndmask_b32_e64 v5, 0, 1, vcc
	v_cmp_gt_u32_e32 vcc, 28, v8
	v_cndmask_b32_e64 v6, 0, 1, vcc
	;; [unrolled: 2-line block ×4, first 2 shown]
	v_lshlrev_b32_e32 v5, 1, v5
	v_lshlrev_b32_e32 v6, 2, v6
	;; [unrolled: 1-line block ×4, first 2 shown]
	v_add_lshl_u32 v5, v5, v9, 2
	v_add_lshl_u32 v6, v6, v9, 2
	;; [unrolled: 1-line block ×4, first 2 shown]
	v_lshlrev_b32_e32 v9, 2, v9
	v_lshlrev_b32_e32 v4, 2, v4
	v_and_b32_e32 v9, 0x180, v9
	s_movk_i32 s0, 0x64
.LBB40_1:                               ; =>This Inner Loop Header: Depth=1
	s_waitcnt vmcnt(0) lgkmcnt(1)
	ds_bpermute_b32 v10, v4, v2
	s_waitcnt lgkmcnt(1)
	ds_bpermute_b32 v11, v4, v3
	s_add_i32 s0, s0, -1
	s_cmp_eq_u32 s0, 0
	s_waitcnt lgkmcnt(0)
	v_add_f64 v[2:3], v[2:3], v[10:11]
	ds_bpermute_b32 v10, v5, v2
	ds_bpermute_b32 v11, v5, v3
	s_waitcnt lgkmcnt(0)
	v_add_f64 v[2:3], v[2:3], v[10:11]
	ds_bpermute_b32 v10, v6, v2
	ds_bpermute_b32 v11, v6, v3
	;; [unrolled: 4-line block ×5, first 2 shown]
	s_cbranch_scc0 .LBB40_1
; %bb.2:
	v_mov_b32_e32 v4, s3
	v_add_co_u32_e32 v0, vcc, s2, v0
	v_addc_co_u32_e32 v1, vcc, v4, v1, vcc
	s_waitcnt lgkmcnt(0)
	global_store_dwordx2 v[0:1], v[2:3], off
	s_endpgm
	.section	.rodata,"a",@progbits
	.p2align	6, 0x0
	.amdhsa_kernel _Z18warp_reduce_kernelILb1EdLj32ELj100EEvPKT0_PS0_
		.amdhsa_group_segment_fixed_size 0
		.amdhsa_private_segment_fixed_size 0
		.amdhsa_kernarg_size 272
		.amdhsa_user_sgpr_count 6
		.amdhsa_user_sgpr_private_segment_buffer 1
		.amdhsa_user_sgpr_dispatch_ptr 0
		.amdhsa_user_sgpr_queue_ptr 0
		.amdhsa_user_sgpr_kernarg_segment_ptr 1
		.amdhsa_user_sgpr_dispatch_id 0
		.amdhsa_user_sgpr_flat_scratch_init 0
		.amdhsa_user_sgpr_kernarg_preload_length 0
		.amdhsa_user_sgpr_kernarg_preload_offset 0
		.amdhsa_user_sgpr_private_segment_size 0
		.amdhsa_uses_dynamic_stack 0
		.amdhsa_system_sgpr_private_segment_wavefront_offset 0
		.amdhsa_system_sgpr_workgroup_id_x 1
		.amdhsa_system_sgpr_workgroup_id_y 0
		.amdhsa_system_sgpr_workgroup_id_z 0
		.amdhsa_system_sgpr_workgroup_info 0
		.amdhsa_system_vgpr_workitem_id 0
		.amdhsa_next_free_vgpr 12
		.amdhsa_next_free_sgpr 8
		.amdhsa_accum_offset 12
		.amdhsa_reserve_vcc 1
		.amdhsa_reserve_flat_scratch 0
		.amdhsa_float_round_mode_32 0
		.amdhsa_float_round_mode_16_64 0
		.amdhsa_float_denorm_mode_32 3
		.amdhsa_float_denorm_mode_16_64 3
		.amdhsa_dx10_clamp 1
		.amdhsa_ieee_mode 1
		.amdhsa_fp16_overflow 0
		.amdhsa_tg_split 0
		.amdhsa_exception_fp_ieee_invalid_op 0
		.amdhsa_exception_fp_denorm_src 0
		.amdhsa_exception_fp_ieee_div_zero 0
		.amdhsa_exception_fp_ieee_overflow 0
		.amdhsa_exception_fp_ieee_underflow 0
		.amdhsa_exception_fp_ieee_inexact 0
		.amdhsa_exception_int_div_zero 0
	.end_amdhsa_kernel
	.section	.text._Z18warp_reduce_kernelILb1EdLj32ELj100EEvPKT0_PS0_,"axG",@progbits,_Z18warp_reduce_kernelILb1EdLj32ELj100EEvPKT0_PS0_,comdat
.Lfunc_end40:
	.size	_Z18warp_reduce_kernelILb1EdLj32ELj100EEvPKT0_PS0_, .Lfunc_end40-_Z18warp_reduce_kernelILb1EdLj32ELj100EEvPKT0_PS0_
                                        ; -- End function
	.section	.AMDGPU.csdata,"",@progbits
; Kernel info:
; codeLenInByte = 416
; NumSgprs: 12
; NumVgprs: 12
; NumAgprs: 0
; TotalNumVgprs: 12
; ScratchSize: 0
; MemoryBound: 0
; FloatMode: 240
; IeeeMode: 1
; LDSByteSize: 0 bytes/workgroup (compile time only)
; SGPRBlocks: 1
; VGPRBlocks: 1
; NumSGPRsForWavesPerEU: 12
; NumVGPRsForWavesPerEU: 12
; AccumOffset: 12
; Occupancy: 8
; WaveLimiterHint : 0
; COMPUTE_PGM_RSRC2:SCRATCH_EN: 0
; COMPUTE_PGM_RSRC2:USER_SGPR: 6
; COMPUTE_PGM_RSRC2:TRAP_HANDLER: 0
; COMPUTE_PGM_RSRC2:TGID_X_EN: 1
; COMPUTE_PGM_RSRC2:TGID_Y_EN: 0
; COMPUTE_PGM_RSRC2:TGID_Z_EN: 0
; COMPUTE_PGM_RSRC2:TIDIG_COMP_CNT: 0
; COMPUTE_PGM_RSRC3_GFX90A:ACCUM_OFFSET: 2
; COMPUTE_PGM_RSRC3_GFX90A:TG_SPLIT: 0
	.section	.text._Z18warp_reduce_kernelILb1EdLj37ELj100EEvPKT0_PS0_,"axG",@progbits,_Z18warp_reduce_kernelILb1EdLj37ELj100EEvPKT0_PS0_,comdat
	.protected	_Z18warp_reduce_kernelILb1EdLj37ELj100EEvPKT0_PS0_ ; -- Begin function _Z18warp_reduce_kernelILb1EdLj37ELj100EEvPKT0_PS0_
	.globl	_Z18warp_reduce_kernelILb1EdLj37ELj100EEvPKT0_PS0_
	.p2align	8
	.type	_Z18warp_reduce_kernelILb1EdLj37ELj100EEvPKT0_PS0_,@function
_Z18warp_reduce_kernelILb1EdLj37ELj100EEvPKT0_PS0_: ; @_Z18warp_reduce_kernelILb1EdLj37ELj100EEvPKT0_PS0_
; %bb.0:
	s_load_dword s0, s[4:5], 0x1c
	s_load_dwordx4 s[8:11], s[4:5], 0x0
	v_mov_b32_e32 v1, 0
	s_movk_i32 s14, 0x64
	s_waitcnt lgkmcnt(0)
	s_and_b32 s0, s0, 0xffff
	s_mul_i32 s6, s6, s0
	v_add_u32_e32 v0, s6, v0
	v_lshlrev_b64 v[2:3], 3, v[0:1]
	v_mov_b32_e32 v0, s9
	v_add_co_u32_e32 v4, vcc, s8, v2
	v_addc_co_u32_e32 v5, vcc, v0, v3, vcc
	global_load_dwordx2 v[4:5], v[4:5], off
	v_mbcnt_lo_u32_b32 v0, -1, 0
	v_mbcnt_hi_u32_b32 v0, -1, v0
	s_mov_b32 s0, 0x6eb3e46
	v_mul_hi_u32 v6, v0, s0
	v_mul_u32_u24_e32 v6, 37, v6
	v_sub_u32_e32 v6, v0, v6
	v_lshlrev_b32_e32 v0, 3, v6
	v_cmp_gt_u32_e32 vcc, 5, v6
	v_cmp_gt_u32_e64 s[0:1], 16, v6
	v_cmp_gt_u32_e64 s[2:3], 8, v6
	;; [unrolled: 1-line block ×4, first 2 shown]
	v_cmp_eq_u32_e64 s[8:9], 0, v6
	s_branch .LBB41_2
.LBB41_1:                               ;   in Loop: Header=BB41_2 Depth=1
	s_or_b64 exec, exec, s[12:13]
	; wave barrier
	ds_read_b64 v[4:5], v1
	s_add_i32 s14, s14, -1
	s_cmp_eq_u32 s14, 0
	s_cbranch_scc1 .LBB41_26
.LBB41_2:                               ; =>This Inner Loop Header: Depth=1
	s_waitcnt vmcnt(0) lgkmcnt(0)
	ds_write_b64 v0, v[4:5]
	; wave barrier
	s_and_saveexec_b64 s[12:13], vcc
	s_cbranch_execz .LBB41_4
; %bb.3:                                ;   in Loop: Header=BB41_2 Depth=1
	ds_read2_b64 v[4:7], v0 offset1:32
	s_waitcnt lgkmcnt(0)
	v_add_f64 v[4:5], v[4:5], v[6:7]
.LBB41_4:                               ;   in Loop: Header=BB41_2 Depth=1
	s_or_b64 exec, exec, s[12:13]
	; wave barrier
	s_and_saveexec_b64 s[12:13], vcc
	s_cbranch_execz .LBB41_6
; %bb.5:                                ;   in Loop: Header=BB41_2 Depth=1
	ds_write_b64 v0, v[4:5]
.LBB41_6:                               ;   in Loop: Header=BB41_2 Depth=1
	s_or_b64 exec, exec, s[12:13]
	; wave barrier
	s_and_saveexec_b64 s[12:13], s[0:1]
	s_cbranch_execz .LBB41_8
; %bb.7:                                ;   in Loop: Header=BB41_2 Depth=1
	ds_read2_b64 v[4:7], v0 offset1:16
	s_waitcnt lgkmcnt(0)
	v_add_f64 v[4:5], v[4:5], v[6:7]
.LBB41_8:                               ;   in Loop: Header=BB41_2 Depth=1
	s_or_b64 exec, exec, s[12:13]
	; wave barrier
	s_and_saveexec_b64 s[12:13], s[0:1]
	s_cbranch_execz .LBB41_10
; %bb.9:                                ;   in Loop: Header=BB41_2 Depth=1
	ds_write_b64 v0, v[4:5]
.LBB41_10:                              ;   in Loop: Header=BB41_2 Depth=1
	s_or_b64 exec, exec, s[12:13]
	; wave barrier
	s_and_saveexec_b64 s[12:13], s[2:3]
	s_cbranch_execz .LBB41_12
; %bb.11:                               ;   in Loop: Header=BB41_2 Depth=1
	ds_read2_b64 v[4:7], v0 offset1:8
	s_waitcnt lgkmcnt(0)
	v_add_f64 v[4:5], v[4:5], v[6:7]
.LBB41_12:                              ;   in Loop: Header=BB41_2 Depth=1
	s_or_b64 exec, exec, s[12:13]
	; wave barrier
	s_and_saveexec_b64 s[12:13], s[2:3]
	s_cbranch_execz .LBB41_14
; %bb.13:                               ;   in Loop: Header=BB41_2 Depth=1
	ds_write_b64 v0, v[4:5]
.LBB41_14:                              ;   in Loop: Header=BB41_2 Depth=1
	s_or_b64 exec, exec, s[12:13]
	; wave barrier
	s_and_saveexec_b64 s[12:13], s[4:5]
	s_cbranch_execz .LBB41_16
; %bb.15:                               ;   in Loop: Header=BB41_2 Depth=1
	ds_read2_b64 v[4:7], v0 offset1:4
	s_waitcnt lgkmcnt(0)
	v_add_f64 v[4:5], v[4:5], v[6:7]
.LBB41_16:                              ;   in Loop: Header=BB41_2 Depth=1
	s_or_b64 exec, exec, s[12:13]
	; wave barrier
	s_and_saveexec_b64 s[12:13], s[4:5]
	s_cbranch_execz .LBB41_18
; %bb.17:                               ;   in Loop: Header=BB41_2 Depth=1
	ds_write_b64 v0, v[4:5]
.LBB41_18:                              ;   in Loop: Header=BB41_2 Depth=1
	;; [unrolled: 16-line block ×3, first 2 shown]
	s_or_b64 exec, exec, s[12:13]
	; wave barrier
	s_and_saveexec_b64 s[12:13], s[8:9]
	s_cbranch_execz .LBB41_24
; %bb.23:                               ;   in Loop: Header=BB41_2 Depth=1
	ds_read_b64 v[4:5], v0
	ds_read_b64 v[6:7], v1 offset:8
	s_waitcnt lgkmcnt(0)
	v_add_f64 v[4:5], v[4:5], v[6:7]
.LBB41_24:                              ;   in Loop: Header=BB41_2 Depth=1
	s_or_b64 exec, exec, s[12:13]
	; wave barrier
	s_and_saveexec_b64 s[12:13], s[8:9]
	s_cbranch_execz .LBB41_1
; %bb.25:                               ;   in Loop: Header=BB41_2 Depth=1
	ds_write_b64 v0, v[4:5]
	s_branch .LBB41_1
.LBB41_26:
	v_mov_b32_e32 v1, s11
	v_add_co_u32_e32 v0, vcc, s10, v2
	v_addc_co_u32_e32 v1, vcc, v1, v3, vcc
	s_waitcnt lgkmcnt(0)
	global_store_dwordx2 v[0:1], v[4:5], off
	s_endpgm
	.section	.rodata,"a",@progbits
	.p2align	6, 0x0
	.amdhsa_kernel _Z18warp_reduce_kernelILb1EdLj37ELj100EEvPKT0_PS0_
		.amdhsa_group_segment_fixed_size 296
		.amdhsa_private_segment_fixed_size 0
		.amdhsa_kernarg_size 272
		.amdhsa_user_sgpr_count 6
		.amdhsa_user_sgpr_private_segment_buffer 1
		.amdhsa_user_sgpr_dispatch_ptr 0
		.amdhsa_user_sgpr_queue_ptr 0
		.amdhsa_user_sgpr_kernarg_segment_ptr 1
		.amdhsa_user_sgpr_dispatch_id 0
		.amdhsa_user_sgpr_flat_scratch_init 0
		.amdhsa_user_sgpr_kernarg_preload_length 0
		.amdhsa_user_sgpr_kernarg_preload_offset 0
		.amdhsa_user_sgpr_private_segment_size 0
		.amdhsa_uses_dynamic_stack 0
		.amdhsa_system_sgpr_private_segment_wavefront_offset 0
		.amdhsa_system_sgpr_workgroup_id_x 1
		.amdhsa_system_sgpr_workgroup_id_y 0
		.amdhsa_system_sgpr_workgroup_id_z 0
		.amdhsa_system_sgpr_workgroup_info 0
		.amdhsa_system_vgpr_workitem_id 0
		.amdhsa_next_free_vgpr 8
		.amdhsa_next_free_sgpr 15
		.amdhsa_accum_offset 8
		.amdhsa_reserve_vcc 1
		.amdhsa_reserve_flat_scratch 0
		.amdhsa_float_round_mode_32 0
		.amdhsa_float_round_mode_16_64 0
		.amdhsa_float_denorm_mode_32 3
		.amdhsa_float_denorm_mode_16_64 3
		.amdhsa_dx10_clamp 1
		.amdhsa_ieee_mode 1
		.amdhsa_fp16_overflow 0
		.amdhsa_tg_split 0
		.amdhsa_exception_fp_ieee_invalid_op 0
		.amdhsa_exception_fp_denorm_src 0
		.amdhsa_exception_fp_ieee_div_zero 0
		.amdhsa_exception_fp_ieee_overflow 0
		.amdhsa_exception_fp_ieee_underflow 0
		.amdhsa_exception_fp_ieee_inexact 0
		.amdhsa_exception_int_div_zero 0
	.end_amdhsa_kernel
	.section	.text._Z18warp_reduce_kernelILb1EdLj37ELj100EEvPKT0_PS0_,"axG",@progbits,_Z18warp_reduce_kernelILb1EdLj37ELj100EEvPKT0_PS0_,comdat
.Lfunc_end41:
	.size	_Z18warp_reduce_kernelILb1EdLj37ELj100EEvPKT0_PS0_, .Lfunc_end41-_Z18warp_reduce_kernelILb1EdLj37ELj100EEvPKT0_PS0_
                                        ; -- End function
	.section	.AMDGPU.csdata,"",@progbits
; Kernel info:
; codeLenInByte = 548
; NumSgprs: 19
; NumVgprs: 8
; NumAgprs: 0
; TotalNumVgprs: 8
; ScratchSize: 0
; MemoryBound: 0
; FloatMode: 240
; IeeeMode: 1
; LDSByteSize: 296 bytes/workgroup (compile time only)
; SGPRBlocks: 2
; VGPRBlocks: 0
; NumSGPRsForWavesPerEU: 19
; NumVGPRsForWavesPerEU: 8
; AccumOffset: 8
; Occupancy: 8
; WaveLimiterHint : 0
; COMPUTE_PGM_RSRC2:SCRATCH_EN: 0
; COMPUTE_PGM_RSRC2:USER_SGPR: 6
; COMPUTE_PGM_RSRC2:TRAP_HANDLER: 0
; COMPUTE_PGM_RSRC2:TGID_X_EN: 1
; COMPUTE_PGM_RSRC2:TGID_Y_EN: 0
; COMPUTE_PGM_RSRC2:TGID_Z_EN: 0
; COMPUTE_PGM_RSRC2:TIDIG_COMP_CNT: 0
; COMPUTE_PGM_RSRC3_GFX90A:ACCUM_OFFSET: 1
; COMPUTE_PGM_RSRC3_GFX90A:TG_SPLIT: 0
	.section	.text._Z18warp_reduce_kernelILb1EdLj61ELj100EEvPKT0_PS0_,"axG",@progbits,_Z18warp_reduce_kernelILb1EdLj61ELj100EEvPKT0_PS0_,comdat
	.protected	_Z18warp_reduce_kernelILb1EdLj61ELj100EEvPKT0_PS0_ ; -- Begin function _Z18warp_reduce_kernelILb1EdLj61ELj100EEvPKT0_PS0_
	.globl	_Z18warp_reduce_kernelILb1EdLj61ELj100EEvPKT0_PS0_
	.p2align	8
	.type	_Z18warp_reduce_kernelILb1EdLj61ELj100EEvPKT0_PS0_,@function
_Z18warp_reduce_kernelILb1EdLj61ELj100EEvPKT0_PS0_: ; @_Z18warp_reduce_kernelILb1EdLj61ELj100EEvPKT0_PS0_
; %bb.0:
	s_load_dword s0, s[4:5], 0x1c
	s_load_dwordx4 s[8:11], s[4:5], 0x0
	v_mov_b32_e32 v1, 0
	s_movk_i32 s14, 0x64
	s_waitcnt lgkmcnt(0)
	s_and_b32 s0, s0, 0xffff
	s_mul_i32 s6, s6, s0
	v_add_u32_e32 v0, s6, v0
	v_lshlrev_b64 v[2:3], 3, v[0:1]
	v_mov_b32_e32 v0, s9
	v_add_co_u32_e32 v4, vcc, s8, v2
	v_addc_co_u32_e32 v5, vcc, v0, v3, vcc
	global_load_dwordx2 v[4:5], v[4:5], off
	v_mbcnt_lo_u32_b32 v0, -1, 0
	v_mbcnt_hi_u32_b32 v0, -1, v0
	s_mov_b32 s0, 0x4325c54
	v_mul_hi_u32 v6, v0, s0
	v_mul_u32_u24_e32 v6, 61, v6
	v_sub_u32_e32 v6, v0, v6
	v_lshlrev_b32_e32 v0, 3, v6
	v_cmp_gt_u32_e32 vcc, 29, v6
	v_cmp_gt_u32_e64 s[0:1], 16, v6
	v_cmp_gt_u32_e64 s[2:3], 8, v6
	v_cmp_gt_u32_e64 s[4:5], 4, v6
	v_cmp_gt_u32_e64 s[6:7], 2, v6
	v_cmp_eq_u32_e64 s[8:9], 0, v6
	s_branch .LBB42_2
.LBB42_1:                               ;   in Loop: Header=BB42_2 Depth=1
	s_or_b64 exec, exec, s[12:13]
	; wave barrier
	ds_read_b64 v[4:5], v1
	s_add_i32 s14, s14, -1
	s_cmp_eq_u32 s14, 0
	s_cbranch_scc1 .LBB42_26
.LBB42_2:                               ; =>This Inner Loop Header: Depth=1
	s_waitcnt vmcnt(0) lgkmcnt(0)
	ds_write_b64 v0, v[4:5]
	; wave barrier
	s_and_saveexec_b64 s[12:13], vcc
	s_cbranch_execz .LBB42_4
; %bb.3:                                ;   in Loop: Header=BB42_2 Depth=1
	ds_read2_b64 v[4:7], v0 offset1:32
	s_waitcnt lgkmcnt(0)
	v_add_f64 v[4:5], v[4:5], v[6:7]
.LBB42_4:                               ;   in Loop: Header=BB42_2 Depth=1
	s_or_b64 exec, exec, s[12:13]
	; wave barrier
	s_and_saveexec_b64 s[12:13], vcc
	s_cbranch_execz .LBB42_6
; %bb.5:                                ;   in Loop: Header=BB42_2 Depth=1
	ds_write_b64 v0, v[4:5]
.LBB42_6:                               ;   in Loop: Header=BB42_2 Depth=1
	s_or_b64 exec, exec, s[12:13]
	; wave barrier
	s_and_saveexec_b64 s[12:13], s[0:1]
	s_cbranch_execz .LBB42_8
; %bb.7:                                ;   in Loop: Header=BB42_2 Depth=1
	ds_read2_b64 v[4:7], v0 offset1:16
	s_waitcnt lgkmcnt(0)
	v_add_f64 v[4:5], v[4:5], v[6:7]
.LBB42_8:                               ;   in Loop: Header=BB42_2 Depth=1
	s_or_b64 exec, exec, s[12:13]
	; wave barrier
	s_and_saveexec_b64 s[12:13], s[0:1]
	s_cbranch_execz .LBB42_10
; %bb.9:                                ;   in Loop: Header=BB42_2 Depth=1
	ds_write_b64 v0, v[4:5]
.LBB42_10:                              ;   in Loop: Header=BB42_2 Depth=1
	s_or_b64 exec, exec, s[12:13]
	; wave barrier
	s_and_saveexec_b64 s[12:13], s[2:3]
	s_cbranch_execz .LBB42_12
; %bb.11:                               ;   in Loop: Header=BB42_2 Depth=1
	ds_read2_b64 v[4:7], v0 offset1:8
	s_waitcnt lgkmcnt(0)
	v_add_f64 v[4:5], v[4:5], v[6:7]
.LBB42_12:                              ;   in Loop: Header=BB42_2 Depth=1
	s_or_b64 exec, exec, s[12:13]
	; wave barrier
	s_and_saveexec_b64 s[12:13], s[2:3]
	s_cbranch_execz .LBB42_14
; %bb.13:                               ;   in Loop: Header=BB42_2 Depth=1
	ds_write_b64 v0, v[4:5]
.LBB42_14:                              ;   in Loop: Header=BB42_2 Depth=1
	s_or_b64 exec, exec, s[12:13]
	; wave barrier
	s_and_saveexec_b64 s[12:13], s[4:5]
	s_cbranch_execz .LBB42_16
; %bb.15:                               ;   in Loop: Header=BB42_2 Depth=1
	ds_read2_b64 v[4:7], v0 offset1:4
	s_waitcnt lgkmcnt(0)
	v_add_f64 v[4:5], v[4:5], v[6:7]
.LBB42_16:                              ;   in Loop: Header=BB42_2 Depth=1
	s_or_b64 exec, exec, s[12:13]
	; wave barrier
	s_and_saveexec_b64 s[12:13], s[4:5]
	s_cbranch_execz .LBB42_18
; %bb.17:                               ;   in Loop: Header=BB42_2 Depth=1
	ds_write_b64 v0, v[4:5]
.LBB42_18:                              ;   in Loop: Header=BB42_2 Depth=1
	;; [unrolled: 16-line block ×3, first 2 shown]
	s_or_b64 exec, exec, s[12:13]
	; wave barrier
	s_and_saveexec_b64 s[12:13], s[8:9]
	s_cbranch_execz .LBB42_24
; %bb.23:                               ;   in Loop: Header=BB42_2 Depth=1
	ds_read_b64 v[4:5], v0
	ds_read_b64 v[6:7], v1 offset:8
	s_waitcnt lgkmcnt(0)
	v_add_f64 v[4:5], v[4:5], v[6:7]
.LBB42_24:                              ;   in Loop: Header=BB42_2 Depth=1
	s_or_b64 exec, exec, s[12:13]
	; wave barrier
	s_and_saveexec_b64 s[12:13], s[8:9]
	s_cbranch_execz .LBB42_1
; %bb.25:                               ;   in Loop: Header=BB42_2 Depth=1
	ds_write_b64 v0, v[4:5]
	s_branch .LBB42_1
.LBB42_26:
	v_mov_b32_e32 v1, s11
	v_add_co_u32_e32 v0, vcc, s10, v2
	v_addc_co_u32_e32 v1, vcc, v1, v3, vcc
	s_waitcnt lgkmcnt(0)
	global_store_dwordx2 v[0:1], v[4:5], off
	s_endpgm
	.section	.rodata,"a",@progbits
	.p2align	6, 0x0
	.amdhsa_kernel _Z18warp_reduce_kernelILb1EdLj61ELj100EEvPKT0_PS0_
		.amdhsa_group_segment_fixed_size 488
		.amdhsa_private_segment_fixed_size 0
		.amdhsa_kernarg_size 272
		.amdhsa_user_sgpr_count 6
		.amdhsa_user_sgpr_private_segment_buffer 1
		.amdhsa_user_sgpr_dispatch_ptr 0
		.amdhsa_user_sgpr_queue_ptr 0
		.amdhsa_user_sgpr_kernarg_segment_ptr 1
		.amdhsa_user_sgpr_dispatch_id 0
		.amdhsa_user_sgpr_flat_scratch_init 0
		.amdhsa_user_sgpr_kernarg_preload_length 0
		.amdhsa_user_sgpr_kernarg_preload_offset 0
		.amdhsa_user_sgpr_private_segment_size 0
		.amdhsa_uses_dynamic_stack 0
		.amdhsa_system_sgpr_private_segment_wavefront_offset 0
		.amdhsa_system_sgpr_workgroup_id_x 1
		.amdhsa_system_sgpr_workgroup_id_y 0
		.amdhsa_system_sgpr_workgroup_id_z 0
		.amdhsa_system_sgpr_workgroup_info 0
		.amdhsa_system_vgpr_workitem_id 0
		.amdhsa_next_free_vgpr 8
		.amdhsa_next_free_sgpr 15
		.amdhsa_accum_offset 8
		.amdhsa_reserve_vcc 1
		.amdhsa_reserve_flat_scratch 0
		.amdhsa_float_round_mode_32 0
		.amdhsa_float_round_mode_16_64 0
		.amdhsa_float_denorm_mode_32 3
		.amdhsa_float_denorm_mode_16_64 3
		.amdhsa_dx10_clamp 1
		.amdhsa_ieee_mode 1
		.amdhsa_fp16_overflow 0
		.amdhsa_tg_split 0
		.amdhsa_exception_fp_ieee_invalid_op 0
		.amdhsa_exception_fp_denorm_src 0
		.amdhsa_exception_fp_ieee_div_zero 0
		.amdhsa_exception_fp_ieee_overflow 0
		.amdhsa_exception_fp_ieee_underflow 0
		.amdhsa_exception_fp_ieee_inexact 0
		.amdhsa_exception_int_div_zero 0
	.end_amdhsa_kernel
	.section	.text._Z18warp_reduce_kernelILb1EdLj61ELj100EEvPKT0_PS0_,"axG",@progbits,_Z18warp_reduce_kernelILb1EdLj61ELj100EEvPKT0_PS0_,comdat
.Lfunc_end42:
	.size	_Z18warp_reduce_kernelILb1EdLj61ELj100EEvPKT0_PS0_, .Lfunc_end42-_Z18warp_reduce_kernelILb1EdLj61ELj100EEvPKT0_PS0_
                                        ; -- End function
	.section	.AMDGPU.csdata,"",@progbits
; Kernel info:
; codeLenInByte = 548
; NumSgprs: 19
; NumVgprs: 8
; NumAgprs: 0
; TotalNumVgprs: 8
; ScratchSize: 0
; MemoryBound: 0
; FloatMode: 240
; IeeeMode: 1
; LDSByteSize: 488 bytes/workgroup (compile time only)
; SGPRBlocks: 2
; VGPRBlocks: 0
; NumSGPRsForWavesPerEU: 19
; NumVGPRsForWavesPerEU: 8
; AccumOffset: 8
; Occupancy: 8
; WaveLimiterHint : 0
; COMPUTE_PGM_RSRC2:SCRATCH_EN: 0
; COMPUTE_PGM_RSRC2:USER_SGPR: 6
; COMPUTE_PGM_RSRC2:TRAP_HANDLER: 0
; COMPUTE_PGM_RSRC2:TGID_X_EN: 1
; COMPUTE_PGM_RSRC2:TGID_Y_EN: 0
; COMPUTE_PGM_RSRC2:TGID_Z_EN: 0
; COMPUTE_PGM_RSRC2:TIDIG_COMP_CNT: 0
; COMPUTE_PGM_RSRC3_GFX90A:ACCUM_OFFSET: 1
; COMPUTE_PGM_RSRC3_GFX90A:TG_SPLIT: 0
	.section	.text._Z18warp_reduce_kernelILb1EdLj64ELj100EEvPKT0_PS0_,"axG",@progbits,_Z18warp_reduce_kernelILb1EdLj64ELj100EEvPKT0_PS0_,comdat
	.protected	_Z18warp_reduce_kernelILb1EdLj64ELj100EEvPKT0_PS0_ ; -- Begin function _Z18warp_reduce_kernelILb1EdLj64ELj100EEvPKT0_PS0_
	.globl	_Z18warp_reduce_kernelILb1EdLj64ELj100EEvPKT0_PS0_
	.p2align	8
	.type	_Z18warp_reduce_kernelILb1EdLj64ELj100EEvPKT0_PS0_,@function
_Z18warp_reduce_kernelILb1EdLj64ELj100EEvPKT0_PS0_: ; @_Z18warp_reduce_kernelILb1EdLj64ELj100EEvPKT0_PS0_
; %bb.0:
	s_load_dword s7, s[4:5], 0x1c
	s_load_dwordx4 s[0:3], s[4:5], 0x0
	v_mov_b32_e32 v1, 0
	v_mbcnt_lo_u32_b32 v4, -1, 0
	v_mbcnt_hi_u32_b32 v4, -1, v4
	s_waitcnt lgkmcnt(0)
	s_and_b32 s4, s7, 0xffff
	s_mul_i32 s6, s6, s4
	v_add_u32_e32 v0, s6, v0
	v_lshlrev_b64 v[0:1], 3, v[0:1]
	v_mov_b32_e32 v3, s1
	v_add_co_u32_e32 v2, vcc, s0, v0
	v_addc_co_u32_e32 v3, vcc, v3, v1, vcc
	global_load_dwordx2 v[2:3], v[2:3], off
	v_bfrev_b32_e32 v5, 0.5
	v_lshl_or_b32 v4, v4, 2, v5
	s_movk_i32 s0, 0x64
.LBB43_1:                               ; =>This Inner Loop Header: Depth=1
	s_waitcnt vmcnt(0) lgkmcnt(1)
	v_mov_b32_dpp v6, v2 quad_perm:[1,0,3,2] row_mask:0xf bank_mask:0xf
	s_waitcnt lgkmcnt(0)
	v_mov_b32_dpp v7, v3 quad_perm:[1,0,3,2] row_mask:0xf bank_mask:0xf
	v_add_f64 v[2:3], v[2:3], v[6:7]
	s_add_i32 s0, s0, -1
	s_cmp_eq_u32 s0, 0
	v_mov_b32_dpp v6, v2 quad_perm:[2,3,0,1] row_mask:0xf bank_mask:0xf
	v_mov_b32_dpp v7, v3 quad_perm:[2,3,0,1] row_mask:0xf bank_mask:0xf
	v_add_f64 v[2:3], v[2:3], v[6:7]
	s_nop 1
	v_mov_b32_dpp v6, v2 row_ror:4 row_mask:0xf bank_mask:0xf
	v_mov_b32_dpp v7, v3 row_ror:4 row_mask:0xf bank_mask:0xf
	v_add_f64 v[2:3], v[2:3], v[6:7]
	s_nop 1
	v_mov_b32_dpp v6, v2 row_ror:8 row_mask:0xf bank_mask:0xf
	v_mov_b32_dpp v7, v3 row_ror:8 row_mask:0xf bank_mask:0xf
	v_add_f64 v[2:3], v[2:3], v[6:7]
	s_nop 1
	v_mov_b32_dpp v6, v2 row_bcast:15 row_mask:0xf bank_mask:0xf
	v_mov_b32_dpp v7, v3 row_bcast:15 row_mask:0xf bank_mask:0xf
	v_add_f64 v[2:3], v[2:3], v[6:7]
	s_nop 1
	v_mov_b32_dpp v6, v2 row_bcast:31 row_mask:0xf bank_mask:0xf
	v_mov_b32_dpp v7, v3 row_bcast:31 row_mask:0xf bank_mask:0xf
	v_add_f64 v[2:3], v[2:3], v[6:7]
	ds_bpermute_b32 v2, v4, v2
	ds_bpermute_b32 v3, v4, v3
	s_cbranch_scc0 .LBB43_1
; %bb.2:
	v_mov_b32_e32 v4, s3
	v_add_co_u32_e32 v0, vcc, s2, v0
	v_addc_co_u32_e32 v1, vcc, v4, v1, vcc
	s_waitcnt lgkmcnt(0)
	global_store_dwordx2 v[0:1], v[2:3], off
	s_endpgm
	.section	.rodata,"a",@progbits
	.p2align	6, 0x0
	.amdhsa_kernel _Z18warp_reduce_kernelILb1EdLj64ELj100EEvPKT0_PS0_
		.amdhsa_group_segment_fixed_size 0
		.amdhsa_private_segment_fixed_size 0
		.amdhsa_kernarg_size 272
		.amdhsa_user_sgpr_count 6
		.amdhsa_user_sgpr_private_segment_buffer 1
		.amdhsa_user_sgpr_dispatch_ptr 0
		.amdhsa_user_sgpr_queue_ptr 0
		.amdhsa_user_sgpr_kernarg_segment_ptr 1
		.amdhsa_user_sgpr_dispatch_id 0
		.amdhsa_user_sgpr_flat_scratch_init 0
		.amdhsa_user_sgpr_kernarg_preload_length 0
		.amdhsa_user_sgpr_kernarg_preload_offset 0
		.amdhsa_user_sgpr_private_segment_size 0
		.amdhsa_uses_dynamic_stack 0
		.amdhsa_system_sgpr_private_segment_wavefront_offset 0
		.amdhsa_system_sgpr_workgroup_id_x 1
		.amdhsa_system_sgpr_workgroup_id_y 0
		.amdhsa_system_sgpr_workgroup_id_z 0
		.amdhsa_system_sgpr_workgroup_info 0
		.amdhsa_system_vgpr_workitem_id 0
		.amdhsa_next_free_vgpr 8
		.amdhsa_next_free_sgpr 8
		.amdhsa_accum_offset 8
		.amdhsa_reserve_vcc 1
		.amdhsa_reserve_flat_scratch 0
		.amdhsa_float_round_mode_32 0
		.amdhsa_float_round_mode_16_64 0
		.amdhsa_float_denorm_mode_32 3
		.amdhsa_float_denorm_mode_16_64 3
		.amdhsa_dx10_clamp 1
		.amdhsa_ieee_mode 1
		.amdhsa_fp16_overflow 0
		.amdhsa_tg_split 0
		.amdhsa_exception_fp_ieee_invalid_op 0
		.amdhsa_exception_fp_denorm_src 0
		.amdhsa_exception_fp_ieee_div_zero 0
		.amdhsa_exception_fp_ieee_overflow 0
		.amdhsa_exception_fp_ieee_underflow 0
		.amdhsa_exception_fp_ieee_inexact 0
		.amdhsa_exception_int_div_zero 0
	.end_amdhsa_kernel
	.section	.text._Z18warp_reduce_kernelILb1EdLj64ELj100EEvPKT0_PS0_,"axG",@progbits,_Z18warp_reduce_kernelILb1EdLj64ELj100EEvPKT0_PS0_,comdat
.Lfunc_end43:
	.size	_Z18warp_reduce_kernelILb1EdLj64ELj100EEvPKT0_PS0_, .Lfunc_end43-_Z18warp_reduce_kernelILb1EdLj64ELj100EEvPKT0_PS0_
                                        ; -- End function
	.section	.AMDGPU.csdata,"",@progbits
; Kernel info:
; codeLenInByte = 324
; NumSgprs: 12
; NumVgprs: 8
; NumAgprs: 0
; TotalNumVgprs: 8
; ScratchSize: 0
; MemoryBound: 0
; FloatMode: 240
; IeeeMode: 1
; LDSByteSize: 0 bytes/workgroup (compile time only)
; SGPRBlocks: 1
; VGPRBlocks: 0
; NumSGPRsForWavesPerEU: 12
; NumVGPRsForWavesPerEU: 8
; AccumOffset: 8
; Occupancy: 8
; WaveLimiterHint : 0
; COMPUTE_PGM_RSRC2:SCRATCH_EN: 0
; COMPUTE_PGM_RSRC2:USER_SGPR: 6
; COMPUTE_PGM_RSRC2:TRAP_HANDLER: 0
; COMPUTE_PGM_RSRC2:TGID_X_EN: 1
; COMPUTE_PGM_RSRC2:TGID_Y_EN: 0
; COMPUTE_PGM_RSRC2:TGID_Z_EN: 0
; COMPUTE_PGM_RSRC2:TIDIG_COMP_CNT: 0
; COMPUTE_PGM_RSRC3_GFX90A:ACCUM_OFFSET: 1
; COMPUTE_PGM_RSRC3_GFX90A:TG_SPLIT: 0
	.section	.text._Z18warp_reduce_kernelILb1EaLj32ELj100EEvPKT0_PS0_,"axG",@progbits,_Z18warp_reduce_kernelILb1EaLj32ELj100EEvPKT0_PS0_,comdat
	.protected	_Z18warp_reduce_kernelILb1EaLj32ELj100EEvPKT0_PS0_ ; -- Begin function _Z18warp_reduce_kernelILb1EaLj32ELj100EEvPKT0_PS0_
	.globl	_Z18warp_reduce_kernelILb1EaLj32ELj100EEvPKT0_PS0_
	.p2align	8
	.type	_Z18warp_reduce_kernelILb1EaLj32ELj100EEvPKT0_PS0_,@function
_Z18warp_reduce_kernelILb1EaLj32ELj100EEvPKT0_PS0_: ; @_Z18warp_reduce_kernelILb1EaLj32ELj100EEvPKT0_PS0_
; %bb.0:
	s_load_dword s7, s[4:5], 0x1c
	s_load_dwordx4 s[0:3], s[4:5], 0x0
	v_mbcnt_lo_u32_b32 v1, -1, 0
	v_mbcnt_hi_u32_b32 v7, -1, v1
	v_and_b32_e32 v6, 31, v7
	s_waitcnt lgkmcnt(0)
	s_and_b32 s4, s7, 0xffff
	s_mul_i32 s6, s6, s4
	v_add_u32_e32 v0, s6, v0
	global_load_ubyte v2, v0, s[0:1]
	v_cmp_ne_u32_e32 vcc, 31, v6
	v_addc_co_u32_e32 v1, vcc, 0, v7, vcc
	v_cmp_gt_u32_e32 vcc, 30, v6
	v_cndmask_b32_e64 v3, 0, 1, vcc
	v_cmp_gt_u32_e32 vcc, 28, v6
	v_cndmask_b32_e64 v4, 0, 1, vcc
	;; [unrolled: 2-line block ×4, first 2 shown]
	v_lshlrev_b32_e32 v3, 1, v3
	v_lshlrev_b32_e32 v4, 2, v4
	;; [unrolled: 1-line block ×4, first 2 shown]
	v_add_lshl_u32 v3, v3, v7, 2
	v_add_lshl_u32 v4, v4, v7, 2
	;; [unrolled: 1-line block ×4, first 2 shown]
	v_lshlrev_b32_e32 v7, 2, v7
	v_lshlrev_b32_e32 v1, 2, v1
	v_and_b32_e32 v7, 0x180, v7
	s_movk_i32 s0, 0x64
.LBB44_1:                               ; =>This Inner Loop Header: Depth=1
	s_waitcnt vmcnt(0) lgkmcnt(0)
	v_and_b32_e32 v8, 0xff, v2
	ds_bpermute_b32 v8, v1, v8
	s_add_i32 s0, s0, -1
	s_cmp_eq_u32 s0, 0
	s_waitcnt lgkmcnt(0)
	v_add_u16_e32 v2, v2, v8
	v_and_b32_e32 v8, 0xff, v2
	ds_bpermute_b32 v8, v3, v8
	s_waitcnt lgkmcnt(0)
	v_add_u16_e32 v2, v2, v8
	v_and_b32_e32 v8, 0xff, v2
	ds_bpermute_b32 v8, v4, v8
	;; [unrolled: 4-line block ×5, first 2 shown]
	s_cbranch_scc0 .LBB44_1
; %bb.2:
	v_mov_b32_e32 v1, s3
	v_add_co_u32_e32 v0, vcc, s2, v0
	v_addc_co_u32_e32 v1, vcc, 0, v1, vcc
	s_waitcnt lgkmcnt(0)
	global_store_byte v[0:1], v2, off
	s_endpgm
	.section	.rodata,"a",@progbits
	.p2align	6, 0x0
	.amdhsa_kernel _Z18warp_reduce_kernelILb1EaLj32ELj100EEvPKT0_PS0_
		.amdhsa_group_segment_fixed_size 0
		.amdhsa_private_segment_fixed_size 0
		.amdhsa_kernarg_size 272
		.amdhsa_user_sgpr_count 6
		.amdhsa_user_sgpr_private_segment_buffer 1
		.amdhsa_user_sgpr_dispatch_ptr 0
		.amdhsa_user_sgpr_queue_ptr 0
		.amdhsa_user_sgpr_kernarg_segment_ptr 1
		.amdhsa_user_sgpr_dispatch_id 0
		.amdhsa_user_sgpr_flat_scratch_init 0
		.amdhsa_user_sgpr_kernarg_preload_length 0
		.amdhsa_user_sgpr_kernarg_preload_offset 0
		.amdhsa_user_sgpr_private_segment_size 0
		.amdhsa_uses_dynamic_stack 0
		.amdhsa_system_sgpr_private_segment_wavefront_offset 0
		.amdhsa_system_sgpr_workgroup_id_x 1
		.amdhsa_system_sgpr_workgroup_id_y 0
		.amdhsa_system_sgpr_workgroup_id_z 0
		.amdhsa_system_sgpr_workgroup_info 0
		.amdhsa_system_vgpr_workitem_id 0
		.amdhsa_next_free_vgpr 9
		.amdhsa_next_free_sgpr 8
		.amdhsa_accum_offset 12
		.amdhsa_reserve_vcc 1
		.amdhsa_reserve_flat_scratch 0
		.amdhsa_float_round_mode_32 0
		.amdhsa_float_round_mode_16_64 0
		.amdhsa_float_denorm_mode_32 3
		.amdhsa_float_denorm_mode_16_64 3
		.amdhsa_dx10_clamp 1
		.amdhsa_ieee_mode 1
		.amdhsa_fp16_overflow 0
		.amdhsa_tg_split 0
		.amdhsa_exception_fp_ieee_invalid_op 0
		.amdhsa_exception_fp_denorm_src 0
		.amdhsa_exception_fp_ieee_div_zero 0
		.amdhsa_exception_fp_ieee_overflow 0
		.amdhsa_exception_fp_ieee_underflow 0
		.amdhsa_exception_fp_ieee_inexact 0
		.amdhsa_exception_int_div_zero 0
	.end_amdhsa_kernel
	.section	.text._Z18warp_reduce_kernelILb1EaLj32ELj100EEvPKT0_PS0_,"axG",@progbits,_Z18warp_reduce_kernelILb1EaLj32ELj100EEvPKT0_PS0_,comdat
.Lfunc_end44:
	.size	_Z18warp_reduce_kernelILb1EaLj32ELj100EEvPKT0_PS0_, .Lfunc_end44-_Z18warp_reduce_kernelILb1EaLj32ELj100EEvPKT0_PS0_
                                        ; -- End function
	.section	.AMDGPU.csdata,"",@progbits
; Kernel info:
; codeLenInByte = 368
; NumSgprs: 12
; NumVgprs: 9
; NumAgprs: 0
; TotalNumVgprs: 9
; ScratchSize: 0
; MemoryBound: 0
; FloatMode: 240
; IeeeMode: 1
; LDSByteSize: 0 bytes/workgroup (compile time only)
; SGPRBlocks: 1
; VGPRBlocks: 1
; NumSGPRsForWavesPerEU: 12
; NumVGPRsForWavesPerEU: 9
; AccumOffset: 12
; Occupancy: 8
; WaveLimiterHint : 0
; COMPUTE_PGM_RSRC2:SCRATCH_EN: 0
; COMPUTE_PGM_RSRC2:USER_SGPR: 6
; COMPUTE_PGM_RSRC2:TRAP_HANDLER: 0
; COMPUTE_PGM_RSRC2:TGID_X_EN: 1
; COMPUTE_PGM_RSRC2:TGID_Y_EN: 0
; COMPUTE_PGM_RSRC2:TGID_Z_EN: 0
; COMPUTE_PGM_RSRC2:TIDIG_COMP_CNT: 0
; COMPUTE_PGM_RSRC3_GFX90A:ACCUM_OFFSET: 2
; COMPUTE_PGM_RSRC3_GFX90A:TG_SPLIT: 0
	.section	.text._Z18warp_reduce_kernelILb1EaLj37ELj100EEvPKT0_PS0_,"axG",@progbits,_Z18warp_reduce_kernelILb1EaLj37ELj100EEvPKT0_PS0_,comdat
	.protected	_Z18warp_reduce_kernelILb1EaLj37ELj100EEvPKT0_PS0_ ; -- Begin function _Z18warp_reduce_kernelILb1EaLj37ELj100EEvPKT0_PS0_
	.globl	_Z18warp_reduce_kernelILb1EaLj37ELj100EEvPKT0_PS0_
	.p2align	8
	.type	_Z18warp_reduce_kernelILb1EaLj37ELj100EEvPKT0_PS0_,@function
_Z18warp_reduce_kernelILb1EaLj37ELj100EEvPKT0_PS0_: ; @_Z18warp_reduce_kernelILb1EaLj37ELj100EEvPKT0_PS0_
; %bb.0:
	s_load_dword s0, s[4:5], 0x1c
	s_load_dwordx4 s[8:11], s[4:5], 0x0
	v_mbcnt_lo_u32_b32 v2, -1, 0
	v_mbcnt_hi_u32_b32 v2, -1, v2
	v_mov_b32_e32 v1, 0
	s_waitcnt lgkmcnt(0)
	s_and_b32 s0, s0, 0xffff
	s_mul_i32 s6, s6, s0
	v_add_u32_e32 v0, s6, v0
	global_load_ubyte v3, v0, s[8:9]
	s_mov_b32 s0, 0x6eb3e46
	v_mul_hi_u32 v4, v2, s0
	v_mul_u32_u24_e32 v4, 37, v4
	v_sub_u32_e32 v2, v2, v4
	v_cmp_gt_u32_e32 vcc, 5, v2
	v_cmp_gt_u32_e64 s[0:1], 16, v2
	v_cmp_gt_u32_e64 s[2:3], 8, v2
	;; [unrolled: 1-line block ×4, first 2 shown]
	v_cmp_eq_u32_e64 s[8:9], 0, v2
	s_movk_i32 s14, 0x64
	s_branch .LBB45_2
.LBB45_1:                               ;   in Loop: Header=BB45_2 Depth=1
	s_or_b64 exec, exec, s[12:13]
	; wave barrier
	ds_read_u8 v3, v1
	s_add_i32 s14, s14, -1
	s_cmp_eq_u32 s14, 0
	s_cbranch_scc1 .LBB45_26
.LBB45_2:                               ; =>This Inner Loop Header: Depth=1
	s_waitcnt vmcnt(0) lgkmcnt(0)
	ds_write_b8 v2, v3
	; wave barrier
	s_and_saveexec_b64 s[12:13], vcc
	s_cbranch_execz .LBB45_4
; %bb.3:                                ;   in Loop: Header=BB45_2 Depth=1
	ds_read_u8 v3, v2
	ds_read_u8 v4, v2 offset:32
	s_waitcnt lgkmcnt(0)
	v_add_u16_e32 v3, v4, v3
.LBB45_4:                               ;   in Loop: Header=BB45_2 Depth=1
	s_or_b64 exec, exec, s[12:13]
	; wave barrier
	s_and_saveexec_b64 s[12:13], vcc
	s_cbranch_execz .LBB45_6
; %bb.5:                                ;   in Loop: Header=BB45_2 Depth=1
	ds_write_b8 v2, v3
.LBB45_6:                               ;   in Loop: Header=BB45_2 Depth=1
	s_or_b64 exec, exec, s[12:13]
	; wave barrier
	s_and_saveexec_b64 s[12:13], s[0:1]
	s_cbranch_execz .LBB45_8
; %bb.7:                                ;   in Loop: Header=BB45_2 Depth=1
	ds_read_u8 v3, v2
	ds_read_u8 v4, v2 offset:16
	s_waitcnt lgkmcnt(0)
	v_add_u16_e32 v3, v4, v3
.LBB45_8:                               ;   in Loop: Header=BB45_2 Depth=1
	s_or_b64 exec, exec, s[12:13]
	; wave barrier
	s_and_saveexec_b64 s[12:13], s[0:1]
	s_cbranch_execz .LBB45_10
; %bb.9:                                ;   in Loop: Header=BB45_2 Depth=1
	ds_write_b8 v2, v3
.LBB45_10:                              ;   in Loop: Header=BB45_2 Depth=1
	s_or_b64 exec, exec, s[12:13]
	; wave barrier
	s_and_saveexec_b64 s[12:13], s[2:3]
	s_cbranch_execz .LBB45_12
; %bb.11:                               ;   in Loop: Header=BB45_2 Depth=1
	ds_read_u8 v3, v2
	ds_read_u8 v4, v2 offset:8
	s_waitcnt lgkmcnt(0)
	v_add_u16_e32 v3, v4, v3
.LBB45_12:                              ;   in Loop: Header=BB45_2 Depth=1
	s_or_b64 exec, exec, s[12:13]
	; wave barrier
	s_and_saveexec_b64 s[12:13], s[2:3]
	s_cbranch_execz .LBB45_14
; %bb.13:                               ;   in Loop: Header=BB45_2 Depth=1
	ds_write_b8 v2, v3
.LBB45_14:                              ;   in Loop: Header=BB45_2 Depth=1
	s_or_b64 exec, exec, s[12:13]
	; wave barrier
	s_and_saveexec_b64 s[12:13], s[4:5]
	s_cbranch_execz .LBB45_16
; %bb.15:                               ;   in Loop: Header=BB45_2 Depth=1
	ds_read_u8 v3, v2
	ds_read_u8 v4, v2 offset:4
	s_waitcnt lgkmcnt(0)
	v_add_u16_e32 v3, v4, v3
.LBB45_16:                              ;   in Loop: Header=BB45_2 Depth=1
	s_or_b64 exec, exec, s[12:13]
	; wave barrier
	s_and_saveexec_b64 s[12:13], s[4:5]
	s_cbranch_execz .LBB45_18
; %bb.17:                               ;   in Loop: Header=BB45_2 Depth=1
	ds_write_b8 v2, v3
.LBB45_18:                              ;   in Loop: Header=BB45_2 Depth=1
	;; [unrolled: 17-line block ×3, first 2 shown]
	s_or_b64 exec, exec, s[12:13]
	; wave barrier
	s_and_saveexec_b64 s[12:13], s[8:9]
	s_cbranch_execz .LBB45_24
; %bb.23:                               ;   in Loop: Header=BB45_2 Depth=1
	ds_read_u8 v3, v2
	ds_read_u8 v4, v1 offset:1
	s_waitcnt lgkmcnt(0)
	v_add_u16_e32 v3, v4, v3
.LBB45_24:                              ;   in Loop: Header=BB45_2 Depth=1
	s_or_b64 exec, exec, s[12:13]
	; wave barrier
	s_and_saveexec_b64 s[12:13], s[8:9]
	s_cbranch_execz .LBB45_1
; %bb.25:                               ;   in Loop: Header=BB45_2 Depth=1
	ds_write_b8 v2, v3
	s_branch .LBB45_1
.LBB45_26:
	v_mov_b32_e32 v1, s11
	v_add_co_u32_e32 v0, vcc, s10, v0
	v_addc_co_u32_e32 v1, vcc, 0, v1, vcc
	s_waitcnt lgkmcnt(0)
	global_store_byte v[0:1], v3, off
	s_endpgm
	.section	.rodata,"a",@progbits
	.p2align	6, 0x0
	.amdhsa_kernel _Z18warp_reduce_kernelILb1EaLj37ELj100EEvPKT0_PS0_
		.amdhsa_group_segment_fixed_size 37
		.amdhsa_private_segment_fixed_size 0
		.amdhsa_kernarg_size 272
		.amdhsa_user_sgpr_count 6
		.amdhsa_user_sgpr_private_segment_buffer 1
		.amdhsa_user_sgpr_dispatch_ptr 0
		.amdhsa_user_sgpr_queue_ptr 0
		.amdhsa_user_sgpr_kernarg_segment_ptr 1
		.amdhsa_user_sgpr_dispatch_id 0
		.amdhsa_user_sgpr_flat_scratch_init 0
		.amdhsa_user_sgpr_kernarg_preload_length 0
		.amdhsa_user_sgpr_kernarg_preload_offset 0
		.amdhsa_user_sgpr_private_segment_size 0
		.amdhsa_uses_dynamic_stack 0
		.amdhsa_system_sgpr_private_segment_wavefront_offset 0
		.amdhsa_system_sgpr_workgroup_id_x 1
		.amdhsa_system_sgpr_workgroup_id_y 0
		.amdhsa_system_sgpr_workgroup_id_z 0
		.amdhsa_system_sgpr_workgroup_info 0
		.amdhsa_system_vgpr_workitem_id 0
		.amdhsa_next_free_vgpr 5
		.amdhsa_next_free_sgpr 15
		.amdhsa_accum_offset 8
		.amdhsa_reserve_vcc 1
		.amdhsa_reserve_flat_scratch 0
		.amdhsa_float_round_mode_32 0
		.amdhsa_float_round_mode_16_64 0
		.amdhsa_float_denorm_mode_32 3
		.amdhsa_float_denorm_mode_16_64 3
		.amdhsa_dx10_clamp 1
		.amdhsa_ieee_mode 1
		.amdhsa_fp16_overflow 0
		.amdhsa_tg_split 0
		.amdhsa_exception_fp_ieee_invalid_op 0
		.amdhsa_exception_fp_denorm_src 0
		.amdhsa_exception_fp_ieee_div_zero 0
		.amdhsa_exception_fp_ieee_overflow 0
		.amdhsa_exception_fp_ieee_underflow 0
		.amdhsa_exception_fp_ieee_inexact 0
		.amdhsa_exception_int_div_zero 0
	.end_amdhsa_kernel
	.section	.text._Z18warp_reduce_kernelILb1EaLj37ELj100EEvPKT0_PS0_,"axG",@progbits,_Z18warp_reduce_kernelILb1EaLj37ELj100EEvPKT0_PS0_,comdat
.Lfunc_end45:
	.size	_Z18warp_reduce_kernelILb1EaLj37ELj100EEvPKT0_PS0_, .Lfunc_end45-_Z18warp_reduce_kernelILb1EaLj37ELj100EEvPKT0_PS0_
                                        ; -- End function
	.section	.AMDGPU.csdata,"",@progbits
; Kernel info:
; codeLenInByte = 540
; NumSgprs: 19
; NumVgprs: 5
; NumAgprs: 0
; TotalNumVgprs: 5
; ScratchSize: 0
; MemoryBound: 0
; FloatMode: 240
; IeeeMode: 1
; LDSByteSize: 37 bytes/workgroup (compile time only)
; SGPRBlocks: 2
; VGPRBlocks: 0
; NumSGPRsForWavesPerEU: 19
; NumVGPRsForWavesPerEU: 5
; AccumOffset: 8
; Occupancy: 8
; WaveLimiterHint : 0
; COMPUTE_PGM_RSRC2:SCRATCH_EN: 0
; COMPUTE_PGM_RSRC2:USER_SGPR: 6
; COMPUTE_PGM_RSRC2:TRAP_HANDLER: 0
; COMPUTE_PGM_RSRC2:TGID_X_EN: 1
; COMPUTE_PGM_RSRC2:TGID_Y_EN: 0
; COMPUTE_PGM_RSRC2:TGID_Z_EN: 0
; COMPUTE_PGM_RSRC2:TIDIG_COMP_CNT: 0
; COMPUTE_PGM_RSRC3_GFX90A:ACCUM_OFFSET: 1
; COMPUTE_PGM_RSRC3_GFX90A:TG_SPLIT: 0
	.section	.text._Z18warp_reduce_kernelILb1EaLj61ELj100EEvPKT0_PS0_,"axG",@progbits,_Z18warp_reduce_kernelILb1EaLj61ELj100EEvPKT0_PS0_,comdat
	.protected	_Z18warp_reduce_kernelILb1EaLj61ELj100EEvPKT0_PS0_ ; -- Begin function _Z18warp_reduce_kernelILb1EaLj61ELj100EEvPKT0_PS0_
	.globl	_Z18warp_reduce_kernelILb1EaLj61ELj100EEvPKT0_PS0_
	.p2align	8
	.type	_Z18warp_reduce_kernelILb1EaLj61ELj100EEvPKT0_PS0_,@function
_Z18warp_reduce_kernelILb1EaLj61ELj100EEvPKT0_PS0_: ; @_Z18warp_reduce_kernelILb1EaLj61ELj100EEvPKT0_PS0_
; %bb.0:
	s_load_dword s0, s[4:5], 0x1c
	s_load_dwordx4 s[8:11], s[4:5], 0x0
	v_mbcnt_lo_u32_b32 v2, -1, 0
	v_mbcnt_hi_u32_b32 v2, -1, v2
	v_mov_b32_e32 v1, 0
	s_waitcnt lgkmcnt(0)
	s_and_b32 s0, s0, 0xffff
	s_mul_i32 s6, s6, s0
	v_add_u32_e32 v0, s6, v0
	global_load_ubyte v3, v0, s[8:9]
	s_mov_b32 s0, 0x4325c54
	v_mul_hi_u32 v4, v2, s0
	v_mul_u32_u24_e32 v4, 61, v4
	v_sub_u32_e32 v2, v2, v4
	v_cmp_gt_u32_e32 vcc, 29, v2
	v_cmp_gt_u32_e64 s[0:1], 16, v2
	v_cmp_gt_u32_e64 s[2:3], 8, v2
	;; [unrolled: 1-line block ×4, first 2 shown]
	v_cmp_eq_u32_e64 s[8:9], 0, v2
	s_movk_i32 s14, 0x64
	s_branch .LBB46_2
.LBB46_1:                               ;   in Loop: Header=BB46_2 Depth=1
	s_or_b64 exec, exec, s[12:13]
	; wave barrier
	ds_read_u8 v3, v1
	s_add_i32 s14, s14, -1
	s_cmp_eq_u32 s14, 0
	s_cbranch_scc1 .LBB46_26
.LBB46_2:                               ; =>This Inner Loop Header: Depth=1
	s_waitcnt vmcnt(0) lgkmcnt(0)
	ds_write_b8 v2, v3
	; wave barrier
	s_and_saveexec_b64 s[12:13], vcc
	s_cbranch_execz .LBB46_4
; %bb.3:                                ;   in Loop: Header=BB46_2 Depth=1
	ds_read_u8 v3, v2
	ds_read_u8 v4, v2 offset:32
	s_waitcnt lgkmcnt(0)
	v_add_u16_e32 v3, v4, v3
.LBB46_4:                               ;   in Loop: Header=BB46_2 Depth=1
	s_or_b64 exec, exec, s[12:13]
	; wave barrier
	s_and_saveexec_b64 s[12:13], vcc
	s_cbranch_execz .LBB46_6
; %bb.5:                                ;   in Loop: Header=BB46_2 Depth=1
	ds_write_b8 v2, v3
.LBB46_6:                               ;   in Loop: Header=BB46_2 Depth=1
	s_or_b64 exec, exec, s[12:13]
	; wave barrier
	s_and_saveexec_b64 s[12:13], s[0:1]
	s_cbranch_execz .LBB46_8
; %bb.7:                                ;   in Loop: Header=BB46_2 Depth=1
	ds_read_u8 v3, v2
	ds_read_u8 v4, v2 offset:16
	s_waitcnt lgkmcnt(0)
	v_add_u16_e32 v3, v4, v3
.LBB46_8:                               ;   in Loop: Header=BB46_2 Depth=1
	s_or_b64 exec, exec, s[12:13]
	; wave barrier
	s_and_saveexec_b64 s[12:13], s[0:1]
	s_cbranch_execz .LBB46_10
; %bb.9:                                ;   in Loop: Header=BB46_2 Depth=1
	ds_write_b8 v2, v3
.LBB46_10:                              ;   in Loop: Header=BB46_2 Depth=1
	s_or_b64 exec, exec, s[12:13]
	; wave barrier
	s_and_saveexec_b64 s[12:13], s[2:3]
	s_cbranch_execz .LBB46_12
; %bb.11:                               ;   in Loop: Header=BB46_2 Depth=1
	ds_read_u8 v3, v2
	ds_read_u8 v4, v2 offset:8
	s_waitcnt lgkmcnt(0)
	v_add_u16_e32 v3, v4, v3
.LBB46_12:                              ;   in Loop: Header=BB46_2 Depth=1
	s_or_b64 exec, exec, s[12:13]
	; wave barrier
	s_and_saveexec_b64 s[12:13], s[2:3]
	s_cbranch_execz .LBB46_14
; %bb.13:                               ;   in Loop: Header=BB46_2 Depth=1
	ds_write_b8 v2, v3
.LBB46_14:                              ;   in Loop: Header=BB46_2 Depth=1
	s_or_b64 exec, exec, s[12:13]
	; wave barrier
	s_and_saveexec_b64 s[12:13], s[4:5]
	s_cbranch_execz .LBB46_16
; %bb.15:                               ;   in Loop: Header=BB46_2 Depth=1
	ds_read_u8 v3, v2
	ds_read_u8 v4, v2 offset:4
	s_waitcnt lgkmcnt(0)
	v_add_u16_e32 v3, v4, v3
.LBB46_16:                              ;   in Loop: Header=BB46_2 Depth=1
	s_or_b64 exec, exec, s[12:13]
	; wave barrier
	s_and_saveexec_b64 s[12:13], s[4:5]
	s_cbranch_execz .LBB46_18
; %bb.17:                               ;   in Loop: Header=BB46_2 Depth=1
	ds_write_b8 v2, v3
.LBB46_18:                              ;   in Loop: Header=BB46_2 Depth=1
	;; [unrolled: 17-line block ×3, first 2 shown]
	s_or_b64 exec, exec, s[12:13]
	; wave barrier
	s_and_saveexec_b64 s[12:13], s[8:9]
	s_cbranch_execz .LBB46_24
; %bb.23:                               ;   in Loop: Header=BB46_2 Depth=1
	ds_read_u8 v3, v2
	ds_read_u8 v4, v1 offset:1
	s_waitcnt lgkmcnt(0)
	v_add_u16_e32 v3, v4, v3
.LBB46_24:                              ;   in Loop: Header=BB46_2 Depth=1
	s_or_b64 exec, exec, s[12:13]
	; wave barrier
	s_and_saveexec_b64 s[12:13], s[8:9]
	s_cbranch_execz .LBB46_1
; %bb.25:                               ;   in Loop: Header=BB46_2 Depth=1
	ds_write_b8 v2, v3
	s_branch .LBB46_1
.LBB46_26:
	v_mov_b32_e32 v1, s11
	v_add_co_u32_e32 v0, vcc, s10, v0
	v_addc_co_u32_e32 v1, vcc, 0, v1, vcc
	s_waitcnt lgkmcnt(0)
	global_store_byte v[0:1], v3, off
	s_endpgm
	.section	.rodata,"a",@progbits
	.p2align	6, 0x0
	.amdhsa_kernel _Z18warp_reduce_kernelILb1EaLj61ELj100EEvPKT0_PS0_
		.amdhsa_group_segment_fixed_size 61
		.amdhsa_private_segment_fixed_size 0
		.amdhsa_kernarg_size 272
		.amdhsa_user_sgpr_count 6
		.amdhsa_user_sgpr_private_segment_buffer 1
		.amdhsa_user_sgpr_dispatch_ptr 0
		.amdhsa_user_sgpr_queue_ptr 0
		.amdhsa_user_sgpr_kernarg_segment_ptr 1
		.amdhsa_user_sgpr_dispatch_id 0
		.amdhsa_user_sgpr_flat_scratch_init 0
		.amdhsa_user_sgpr_kernarg_preload_length 0
		.amdhsa_user_sgpr_kernarg_preload_offset 0
		.amdhsa_user_sgpr_private_segment_size 0
		.amdhsa_uses_dynamic_stack 0
		.amdhsa_system_sgpr_private_segment_wavefront_offset 0
		.amdhsa_system_sgpr_workgroup_id_x 1
		.amdhsa_system_sgpr_workgroup_id_y 0
		.amdhsa_system_sgpr_workgroup_id_z 0
		.amdhsa_system_sgpr_workgroup_info 0
		.amdhsa_system_vgpr_workitem_id 0
		.amdhsa_next_free_vgpr 5
		.amdhsa_next_free_sgpr 15
		.amdhsa_accum_offset 8
		.amdhsa_reserve_vcc 1
		.amdhsa_reserve_flat_scratch 0
		.amdhsa_float_round_mode_32 0
		.amdhsa_float_round_mode_16_64 0
		.amdhsa_float_denorm_mode_32 3
		.amdhsa_float_denorm_mode_16_64 3
		.amdhsa_dx10_clamp 1
		.amdhsa_ieee_mode 1
		.amdhsa_fp16_overflow 0
		.amdhsa_tg_split 0
		.amdhsa_exception_fp_ieee_invalid_op 0
		.amdhsa_exception_fp_denorm_src 0
		.amdhsa_exception_fp_ieee_div_zero 0
		.amdhsa_exception_fp_ieee_overflow 0
		.amdhsa_exception_fp_ieee_underflow 0
		.amdhsa_exception_fp_ieee_inexact 0
		.amdhsa_exception_int_div_zero 0
	.end_amdhsa_kernel
	.section	.text._Z18warp_reduce_kernelILb1EaLj61ELj100EEvPKT0_PS0_,"axG",@progbits,_Z18warp_reduce_kernelILb1EaLj61ELj100EEvPKT0_PS0_,comdat
.Lfunc_end46:
	.size	_Z18warp_reduce_kernelILb1EaLj61ELj100EEvPKT0_PS0_, .Lfunc_end46-_Z18warp_reduce_kernelILb1EaLj61ELj100EEvPKT0_PS0_
                                        ; -- End function
	.section	.AMDGPU.csdata,"",@progbits
; Kernel info:
; codeLenInByte = 540
; NumSgprs: 19
; NumVgprs: 5
; NumAgprs: 0
; TotalNumVgprs: 5
; ScratchSize: 0
; MemoryBound: 0
; FloatMode: 240
; IeeeMode: 1
; LDSByteSize: 61 bytes/workgroup (compile time only)
; SGPRBlocks: 2
; VGPRBlocks: 0
; NumSGPRsForWavesPerEU: 19
; NumVGPRsForWavesPerEU: 5
; AccumOffset: 8
; Occupancy: 8
; WaveLimiterHint : 0
; COMPUTE_PGM_RSRC2:SCRATCH_EN: 0
; COMPUTE_PGM_RSRC2:USER_SGPR: 6
; COMPUTE_PGM_RSRC2:TRAP_HANDLER: 0
; COMPUTE_PGM_RSRC2:TGID_X_EN: 1
; COMPUTE_PGM_RSRC2:TGID_Y_EN: 0
; COMPUTE_PGM_RSRC2:TGID_Z_EN: 0
; COMPUTE_PGM_RSRC2:TIDIG_COMP_CNT: 0
; COMPUTE_PGM_RSRC3_GFX90A:ACCUM_OFFSET: 1
; COMPUTE_PGM_RSRC3_GFX90A:TG_SPLIT: 0
	.section	.text._Z18warp_reduce_kernelILb1EaLj64ELj100EEvPKT0_PS0_,"axG",@progbits,_Z18warp_reduce_kernelILb1EaLj64ELj100EEvPKT0_PS0_,comdat
	.protected	_Z18warp_reduce_kernelILb1EaLj64ELj100EEvPKT0_PS0_ ; -- Begin function _Z18warp_reduce_kernelILb1EaLj64ELj100EEvPKT0_PS0_
	.globl	_Z18warp_reduce_kernelILb1EaLj64ELj100EEvPKT0_PS0_
	.p2align	8
	.type	_Z18warp_reduce_kernelILb1EaLj64ELj100EEvPKT0_PS0_,@function
_Z18warp_reduce_kernelILb1EaLj64ELj100EEvPKT0_PS0_: ; @_Z18warp_reduce_kernelILb1EaLj64ELj100EEvPKT0_PS0_
; %bb.0:
	s_load_dword s7, s[4:5], 0x1c
	s_load_dwordx4 s[0:3], s[4:5], 0x0
	v_mbcnt_lo_u32_b32 v1, -1, 0
	v_mbcnt_hi_u32_b32 v1, -1, v1
	v_bfrev_b32_e32 v3, 0.5
	s_waitcnt lgkmcnt(0)
	s_and_b32 s4, s7, 0xffff
	s_mul_i32 s6, s6, s4
	v_add_u32_e32 v0, s6, v0
	global_load_ubyte v2, v0, s[0:1]
	v_lshl_or_b32 v1, v1, 2, v3
	s_movk_i32 s0, 0x64
.LBB47_1:                               ; =>This Inner Loop Header: Depth=1
	s_waitcnt vmcnt(0) lgkmcnt(0)
	v_and_b32_e32 v3, 0xff, v2
	s_add_i32 s0, s0, -1
	s_cmp_eq_u32 s0, 0
	v_mov_b32_dpp v3, v3 quad_perm:[1,0,3,2] row_mask:0xf bank_mask:0xf
	v_add_u16_e32 v2, v2, v3
	v_and_b32_e32 v3, 0xff, v2
	s_nop 1
	v_mov_b32_dpp v3, v3 quad_perm:[2,3,0,1] row_mask:0xf bank_mask:0xf
	v_add_u16_e32 v2, v2, v3
	v_and_b32_e32 v3, 0xff, v2
	s_nop 1
	v_mov_b32_dpp v3, v3 row_ror:4 row_mask:0xf bank_mask:0xf
	v_add_u16_e32 v2, v2, v3
	v_and_b32_e32 v3, 0xff, v2
	s_nop 1
	v_mov_b32_dpp v3, v3 row_ror:8 row_mask:0xf bank_mask:0xf
	v_add_u16_e32 v2, v2, v3
	v_and_b32_e32 v3, 0xff, v2
	s_nop 1
	v_mov_b32_dpp v3, v3 row_bcast:15 row_mask:0xf bank_mask:0xf
	v_add_u16_e32 v2, v2, v3
	v_and_b32_e32 v3, 0xff, v2
	s_nop 1
	v_mov_b32_dpp v3, v3 row_bcast:31 row_mask:0xf bank_mask:0xf
	v_add_u16_e32 v2, v2, v3
	v_and_b32_e32 v2, 0xff, v2
	ds_bpermute_b32 v2, v1, v2
	s_cbranch_scc0 .LBB47_1
; %bb.2:
	v_mov_b32_e32 v1, s3
	v_add_co_u32_e32 v0, vcc, s2, v0
	v_addc_co_u32_e32 v1, vcc, 0, v1, vcc
	s_waitcnt lgkmcnt(0)
	global_store_byte v[0:1], v2, off
	s_endpgm
	.section	.rodata,"a",@progbits
	.p2align	6, 0x0
	.amdhsa_kernel _Z18warp_reduce_kernelILb1EaLj64ELj100EEvPKT0_PS0_
		.amdhsa_group_segment_fixed_size 0
		.amdhsa_private_segment_fixed_size 0
		.amdhsa_kernarg_size 272
		.amdhsa_user_sgpr_count 6
		.amdhsa_user_sgpr_private_segment_buffer 1
		.amdhsa_user_sgpr_dispatch_ptr 0
		.amdhsa_user_sgpr_queue_ptr 0
		.amdhsa_user_sgpr_kernarg_segment_ptr 1
		.amdhsa_user_sgpr_dispatch_id 0
		.amdhsa_user_sgpr_flat_scratch_init 0
		.amdhsa_user_sgpr_kernarg_preload_length 0
		.amdhsa_user_sgpr_kernarg_preload_offset 0
		.amdhsa_user_sgpr_private_segment_size 0
		.amdhsa_uses_dynamic_stack 0
		.amdhsa_system_sgpr_private_segment_wavefront_offset 0
		.amdhsa_system_sgpr_workgroup_id_x 1
		.amdhsa_system_sgpr_workgroup_id_y 0
		.amdhsa_system_sgpr_workgroup_id_z 0
		.amdhsa_system_sgpr_workgroup_info 0
		.amdhsa_system_vgpr_workitem_id 0
		.amdhsa_next_free_vgpr 4
		.amdhsa_next_free_sgpr 8
		.amdhsa_accum_offset 4
		.amdhsa_reserve_vcc 1
		.amdhsa_reserve_flat_scratch 0
		.amdhsa_float_round_mode_32 0
		.amdhsa_float_round_mode_16_64 0
		.amdhsa_float_denorm_mode_32 3
		.amdhsa_float_denorm_mode_16_64 3
		.amdhsa_dx10_clamp 1
		.amdhsa_ieee_mode 1
		.amdhsa_fp16_overflow 0
		.amdhsa_tg_split 0
		.amdhsa_exception_fp_ieee_invalid_op 0
		.amdhsa_exception_fp_denorm_src 0
		.amdhsa_exception_fp_ieee_div_zero 0
		.amdhsa_exception_fp_ieee_overflow 0
		.amdhsa_exception_fp_ieee_underflow 0
		.amdhsa_exception_fp_ieee_inexact 0
		.amdhsa_exception_int_div_zero 0
	.end_amdhsa_kernel
	.section	.text._Z18warp_reduce_kernelILb1EaLj64ELj100EEvPKT0_PS0_,"axG",@progbits,_Z18warp_reduce_kernelILb1EaLj64ELj100EEvPKT0_PS0_,comdat
.Lfunc_end47:
	.size	_Z18warp_reduce_kernelILb1EaLj64ELj100EEvPKT0_PS0_, .Lfunc_end47-_Z18warp_reduce_kernelILb1EaLj64ELj100EEvPKT0_PS0_
                                        ; -- End function
	.section	.AMDGPU.csdata,"",@progbits
; Kernel info:
; codeLenInByte = 276
; NumSgprs: 12
; NumVgprs: 4
; NumAgprs: 0
; TotalNumVgprs: 4
; ScratchSize: 0
; MemoryBound: 0
; FloatMode: 240
; IeeeMode: 1
; LDSByteSize: 0 bytes/workgroup (compile time only)
; SGPRBlocks: 1
; VGPRBlocks: 0
; NumSGPRsForWavesPerEU: 12
; NumVGPRsForWavesPerEU: 4
; AccumOffset: 4
; Occupancy: 8
; WaveLimiterHint : 0
; COMPUTE_PGM_RSRC2:SCRATCH_EN: 0
; COMPUTE_PGM_RSRC2:USER_SGPR: 6
; COMPUTE_PGM_RSRC2:TRAP_HANDLER: 0
; COMPUTE_PGM_RSRC2:TGID_X_EN: 1
; COMPUTE_PGM_RSRC2:TGID_Y_EN: 0
; COMPUTE_PGM_RSRC2:TGID_Z_EN: 0
; COMPUTE_PGM_RSRC2:TIDIG_COMP_CNT: 0
; COMPUTE_PGM_RSRC3_GFX90A:ACCUM_OFFSET: 0
; COMPUTE_PGM_RSRC3_GFX90A:TG_SPLIT: 0
	.section	.text._Z18warp_reduce_kernelILb1EhLj32ELj100EEvPKT0_PS0_,"axG",@progbits,_Z18warp_reduce_kernelILb1EhLj32ELj100EEvPKT0_PS0_,comdat
	.protected	_Z18warp_reduce_kernelILb1EhLj32ELj100EEvPKT0_PS0_ ; -- Begin function _Z18warp_reduce_kernelILb1EhLj32ELj100EEvPKT0_PS0_
	.globl	_Z18warp_reduce_kernelILb1EhLj32ELj100EEvPKT0_PS0_
	.p2align	8
	.type	_Z18warp_reduce_kernelILb1EhLj32ELj100EEvPKT0_PS0_,@function
_Z18warp_reduce_kernelILb1EhLj32ELj100EEvPKT0_PS0_: ; @_Z18warp_reduce_kernelILb1EhLj32ELj100EEvPKT0_PS0_
; %bb.0:
	s_load_dword s7, s[4:5], 0x1c
	s_load_dwordx4 s[0:3], s[4:5], 0x0
	v_mbcnt_lo_u32_b32 v1, -1, 0
	v_mbcnt_hi_u32_b32 v7, -1, v1
	v_and_b32_e32 v6, 31, v7
	s_waitcnt lgkmcnt(0)
	s_and_b32 s4, s7, 0xffff
	s_mul_i32 s6, s6, s4
	v_add_u32_e32 v0, s6, v0
	global_load_ubyte v2, v0, s[0:1]
	v_cmp_ne_u32_e32 vcc, 31, v6
	v_addc_co_u32_e32 v1, vcc, 0, v7, vcc
	v_cmp_gt_u32_e32 vcc, 30, v6
	v_cndmask_b32_e64 v3, 0, 1, vcc
	v_cmp_gt_u32_e32 vcc, 28, v6
	v_cndmask_b32_e64 v4, 0, 1, vcc
	;; [unrolled: 2-line block ×4, first 2 shown]
	v_lshlrev_b32_e32 v3, 1, v3
	v_lshlrev_b32_e32 v4, 2, v4
	;; [unrolled: 1-line block ×4, first 2 shown]
	v_add_lshl_u32 v3, v3, v7, 2
	v_add_lshl_u32 v4, v4, v7, 2
	;; [unrolled: 1-line block ×4, first 2 shown]
	v_lshlrev_b32_e32 v7, 2, v7
	v_lshlrev_b32_e32 v1, 2, v1
	v_and_b32_e32 v7, 0x180, v7
	s_movk_i32 s0, 0x64
.LBB48_1:                               ; =>This Inner Loop Header: Depth=1
	s_waitcnt vmcnt(0) lgkmcnt(0)
	v_and_b32_e32 v8, 0xff, v2
	ds_bpermute_b32 v8, v1, v8
	s_add_i32 s0, s0, -1
	s_cmp_eq_u32 s0, 0
	s_waitcnt lgkmcnt(0)
	v_add_u16_e32 v2, v2, v8
	v_and_b32_e32 v8, 0xff, v2
	ds_bpermute_b32 v8, v3, v8
	s_waitcnt lgkmcnt(0)
	v_add_u16_e32 v2, v2, v8
	v_and_b32_e32 v8, 0xff, v2
	ds_bpermute_b32 v8, v4, v8
	;; [unrolled: 4-line block ×5, first 2 shown]
	s_cbranch_scc0 .LBB48_1
; %bb.2:
	v_mov_b32_e32 v1, s3
	v_add_co_u32_e32 v0, vcc, s2, v0
	v_addc_co_u32_e32 v1, vcc, 0, v1, vcc
	s_waitcnt lgkmcnt(0)
	global_store_byte v[0:1], v2, off
	s_endpgm
	.section	.rodata,"a",@progbits
	.p2align	6, 0x0
	.amdhsa_kernel _Z18warp_reduce_kernelILb1EhLj32ELj100EEvPKT0_PS0_
		.amdhsa_group_segment_fixed_size 0
		.amdhsa_private_segment_fixed_size 0
		.amdhsa_kernarg_size 272
		.amdhsa_user_sgpr_count 6
		.amdhsa_user_sgpr_private_segment_buffer 1
		.amdhsa_user_sgpr_dispatch_ptr 0
		.amdhsa_user_sgpr_queue_ptr 0
		.amdhsa_user_sgpr_kernarg_segment_ptr 1
		.amdhsa_user_sgpr_dispatch_id 0
		.amdhsa_user_sgpr_flat_scratch_init 0
		.amdhsa_user_sgpr_kernarg_preload_length 0
		.amdhsa_user_sgpr_kernarg_preload_offset 0
		.amdhsa_user_sgpr_private_segment_size 0
		.amdhsa_uses_dynamic_stack 0
		.amdhsa_system_sgpr_private_segment_wavefront_offset 0
		.amdhsa_system_sgpr_workgroup_id_x 1
		.amdhsa_system_sgpr_workgroup_id_y 0
		.amdhsa_system_sgpr_workgroup_id_z 0
		.amdhsa_system_sgpr_workgroup_info 0
		.amdhsa_system_vgpr_workitem_id 0
		.amdhsa_next_free_vgpr 9
		.amdhsa_next_free_sgpr 8
		.amdhsa_accum_offset 12
		.amdhsa_reserve_vcc 1
		.amdhsa_reserve_flat_scratch 0
		.amdhsa_float_round_mode_32 0
		.amdhsa_float_round_mode_16_64 0
		.amdhsa_float_denorm_mode_32 3
		.amdhsa_float_denorm_mode_16_64 3
		.amdhsa_dx10_clamp 1
		.amdhsa_ieee_mode 1
		.amdhsa_fp16_overflow 0
		.amdhsa_tg_split 0
		.amdhsa_exception_fp_ieee_invalid_op 0
		.amdhsa_exception_fp_denorm_src 0
		.amdhsa_exception_fp_ieee_div_zero 0
		.amdhsa_exception_fp_ieee_overflow 0
		.amdhsa_exception_fp_ieee_underflow 0
		.amdhsa_exception_fp_ieee_inexact 0
		.amdhsa_exception_int_div_zero 0
	.end_amdhsa_kernel
	.section	.text._Z18warp_reduce_kernelILb1EhLj32ELj100EEvPKT0_PS0_,"axG",@progbits,_Z18warp_reduce_kernelILb1EhLj32ELj100EEvPKT0_PS0_,comdat
.Lfunc_end48:
	.size	_Z18warp_reduce_kernelILb1EhLj32ELj100EEvPKT0_PS0_, .Lfunc_end48-_Z18warp_reduce_kernelILb1EhLj32ELj100EEvPKT0_PS0_
                                        ; -- End function
	.section	.AMDGPU.csdata,"",@progbits
; Kernel info:
; codeLenInByte = 368
; NumSgprs: 12
; NumVgprs: 9
; NumAgprs: 0
; TotalNumVgprs: 9
; ScratchSize: 0
; MemoryBound: 0
; FloatMode: 240
; IeeeMode: 1
; LDSByteSize: 0 bytes/workgroup (compile time only)
; SGPRBlocks: 1
; VGPRBlocks: 1
; NumSGPRsForWavesPerEU: 12
; NumVGPRsForWavesPerEU: 9
; AccumOffset: 12
; Occupancy: 8
; WaveLimiterHint : 0
; COMPUTE_PGM_RSRC2:SCRATCH_EN: 0
; COMPUTE_PGM_RSRC2:USER_SGPR: 6
; COMPUTE_PGM_RSRC2:TRAP_HANDLER: 0
; COMPUTE_PGM_RSRC2:TGID_X_EN: 1
; COMPUTE_PGM_RSRC2:TGID_Y_EN: 0
; COMPUTE_PGM_RSRC2:TGID_Z_EN: 0
; COMPUTE_PGM_RSRC2:TIDIG_COMP_CNT: 0
; COMPUTE_PGM_RSRC3_GFX90A:ACCUM_OFFSET: 2
; COMPUTE_PGM_RSRC3_GFX90A:TG_SPLIT: 0
	.section	.text._Z18warp_reduce_kernelILb1EhLj37ELj100EEvPKT0_PS0_,"axG",@progbits,_Z18warp_reduce_kernelILb1EhLj37ELj100EEvPKT0_PS0_,comdat
	.protected	_Z18warp_reduce_kernelILb1EhLj37ELj100EEvPKT0_PS0_ ; -- Begin function _Z18warp_reduce_kernelILb1EhLj37ELj100EEvPKT0_PS0_
	.globl	_Z18warp_reduce_kernelILb1EhLj37ELj100EEvPKT0_PS0_
	.p2align	8
	.type	_Z18warp_reduce_kernelILb1EhLj37ELj100EEvPKT0_PS0_,@function
_Z18warp_reduce_kernelILb1EhLj37ELj100EEvPKT0_PS0_: ; @_Z18warp_reduce_kernelILb1EhLj37ELj100EEvPKT0_PS0_
; %bb.0:
	s_load_dword s0, s[4:5], 0x1c
	s_load_dwordx4 s[8:11], s[4:5], 0x0
	v_mbcnt_lo_u32_b32 v2, -1, 0
	v_mbcnt_hi_u32_b32 v2, -1, v2
	v_mov_b32_e32 v1, 0
	s_waitcnt lgkmcnt(0)
	s_and_b32 s0, s0, 0xffff
	s_mul_i32 s6, s6, s0
	v_add_u32_e32 v0, s6, v0
	global_load_ubyte v3, v0, s[8:9]
	s_mov_b32 s0, 0x6eb3e46
	v_mul_hi_u32 v4, v2, s0
	v_mul_u32_u24_e32 v4, 37, v4
	v_sub_u32_e32 v2, v2, v4
	v_cmp_gt_u32_e32 vcc, 5, v2
	v_cmp_gt_u32_e64 s[0:1], 16, v2
	v_cmp_gt_u32_e64 s[2:3], 8, v2
	;; [unrolled: 1-line block ×4, first 2 shown]
	v_cmp_eq_u32_e64 s[8:9], 0, v2
	s_movk_i32 s14, 0x64
	s_branch .LBB49_2
.LBB49_1:                               ;   in Loop: Header=BB49_2 Depth=1
	s_or_b64 exec, exec, s[12:13]
	; wave barrier
	ds_read_u8 v3, v1
	s_add_i32 s14, s14, -1
	s_cmp_eq_u32 s14, 0
	s_cbranch_scc1 .LBB49_26
.LBB49_2:                               ; =>This Inner Loop Header: Depth=1
	s_waitcnt vmcnt(0) lgkmcnt(0)
	ds_write_b8 v2, v3
	; wave barrier
	s_and_saveexec_b64 s[12:13], vcc
	s_cbranch_execz .LBB49_4
; %bb.3:                                ;   in Loop: Header=BB49_2 Depth=1
	ds_read_u8 v3, v2
	ds_read_u8 v4, v2 offset:32
	s_waitcnt lgkmcnt(0)
	v_add_u16_e32 v3, v4, v3
.LBB49_4:                               ;   in Loop: Header=BB49_2 Depth=1
	s_or_b64 exec, exec, s[12:13]
	; wave barrier
	s_and_saveexec_b64 s[12:13], vcc
	s_cbranch_execz .LBB49_6
; %bb.5:                                ;   in Loop: Header=BB49_2 Depth=1
	ds_write_b8 v2, v3
.LBB49_6:                               ;   in Loop: Header=BB49_2 Depth=1
	s_or_b64 exec, exec, s[12:13]
	; wave barrier
	s_and_saveexec_b64 s[12:13], s[0:1]
	s_cbranch_execz .LBB49_8
; %bb.7:                                ;   in Loop: Header=BB49_2 Depth=1
	ds_read_u8 v3, v2
	ds_read_u8 v4, v2 offset:16
	s_waitcnt lgkmcnt(0)
	v_add_u16_e32 v3, v4, v3
.LBB49_8:                               ;   in Loop: Header=BB49_2 Depth=1
	s_or_b64 exec, exec, s[12:13]
	; wave barrier
	s_and_saveexec_b64 s[12:13], s[0:1]
	s_cbranch_execz .LBB49_10
; %bb.9:                                ;   in Loop: Header=BB49_2 Depth=1
	ds_write_b8 v2, v3
.LBB49_10:                              ;   in Loop: Header=BB49_2 Depth=1
	s_or_b64 exec, exec, s[12:13]
	; wave barrier
	s_and_saveexec_b64 s[12:13], s[2:3]
	s_cbranch_execz .LBB49_12
; %bb.11:                               ;   in Loop: Header=BB49_2 Depth=1
	ds_read_u8 v3, v2
	ds_read_u8 v4, v2 offset:8
	s_waitcnt lgkmcnt(0)
	v_add_u16_e32 v3, v4, v3
.LBB49_12:                              ;   in Loop: Header=BB49_2 Depth=1
	s_or_b64 exec, exec, s[12:13]
	; wave barrier
	s_and_saveexec_b64 s[12:13], s[2:3]
	s_cbranch_execz .LBB49_14
; %bb.13:                               ;   in Loop: Header=BB49_2 Depth=1
	ds_write_b8 v2, v3
.LBB49_14:                              ;   in Loop: Header=BB49_2 Depth=1
	s_or_b64 exec, exec, s[12:13]
	; wave barrier
	s_and_saveexec_b64 s[12:13], s[4:5]
	s_cbranch_execz .LBB49_16
; %bb.15:                               ;   in Loop: Header=BB49_2 Depth=1
	ds_read_u8 v3, v2
	ds_read_u8 v4, v2 offset:4
	s_waitcnt lgkmcnt(0)
	v_add_u16_e32 v3, v4, v3
.LBB49_16:                              ;   in Loop: Header=BB49_2 Depth=1
	s_or_b64 exec, exec, s[12:13]
	; wave barrier
	s_and_saveexec_b64 s[12:13], s[4:5]
	s_cbranch_execz .LBB49_18
; %bb.17:                               ;   in Loop: Header=BB49_2 Depth=1
	ds_write_b8 v2, v3
.LBB49_18:                              ;   in Loop: Header=BB49_2 Depth=1
	;; [unrolled: 17-line block ×3, first 2 shown]
	s_or_b64 exec, exec, s[12:13]
	; wave barrier
	s_and_saveexec_b64 s[12:13], s[8:9]
	s_cbranch_execz .LBB49_24
; %bb.23:                               ;   in Loop: Header=BB49_2 Depth=1
	ds_read_u8 v3, v2
	ds_read_u8 v4, v1 offset:1
	s_waitcnt lgkmcnt(0)
	v_add_u16_e32 v3, v4, v3
.LBB49_24:                              ;   in Loop: Header=BB49_2 Depth=1
	s_or_b64 exec, exec, s[12:13]
	; wave barrier
	s_and_saveexec_b64 s[12:13], s[8:9]
	s_cbranch_execz .LBB49_1
; %bb.25:                               ;   in Loop: Header=BB49_2 Depth=1
	ds_write_b8 v2, v3
	s_branch .LBB49_1
.LBB49_26:
	v_mov_b32_e32 v1, s11
	v_add_co_u32_e32 v0, vcc, s10, v0
	v_addc_co_u32_e32 v1, vcc, 0, v1, vcc
	s_waitcnt lgkmcnt(0)
	global_store_byte v[0:1], v3, off
	s_endpgm
	.section	.rodata,"a",@progbits
	.p2align	6, 0x0
	.amdhsa_kernel _Z18warp_reduce_kernelILb1EhLj37ELj100EEvPKT0_PS0_
		.amdhsa_group_segment_fixed_size 37
		.amdhsa_private_segment_fixed_size 0
		.amdhsa_kernarg_size 272
		.amdhsa_user_sgpr_count 6
		.amdhsa_user_sgpr_private_segment_buffer 1
		.amdhsa_user_sgpr_dispatch_ptr 0
		.amdhsa_user_sgpr_queue_ptr 0
		.amdhsa_user_sgpr_kernarg_segment_ptr 1
		.amdhsa_user_sgpr_dispatch_id 0
		.amdhsa_user_sgpr_flat_scratch_init 0
		.amdhsa_user_sgpr_kernarg_preload_length 0
		.amdhsa_user_sgpr_kernarg_preload_offset 0
		.amdhsa_user_sgpr_private_segment_size 0
		.amdhsa_uses_dynamic_stack 0
		.amdhsa_system_sgpr_private_segment_wavefront_offset 0
		.amdhsa_system_sgpr_workgroup_id_x 1
		.amdhsa_system_sgpr_workgroup_id_y 0
		.amdhsa_system_sgpr_workgroup_id_z 0
		.amdhsa_system_sgpr_workgroup_info 0
		.amdhsa_system_vgpr_workitem_id 0
		.amdhsa_next_free_vgpr 5
		.amdhsa_next_free_sgpr 15
		.amdhsa_accum_offset 8
		.amdhsa_reserve_vcc 1
		.amdhsa_reserve_flat_scratch 0
		.amdhsa_float_round_mode_32 0
		.amdhsa_float_round_mode_16_64 0
		.amdhsa_float_denorm_mode_32 3
		.amdhsa_float_denorm_mode_16_64 3
		.amdhsa_dx10_clamp 1
		.amdhsa_ieee_mode 1
		.amdhsa_fp16_overflow 0
		.amdhsa_tg_split 0
		.amdhsa_exception_fp_ieee_invalid_op 0
		.amdhsa_exception_fp_denorm_src 0
		.amdhsa_exception_fp_ieee_div_zero 0
		.amdhsa_exception_fp_ieee_overflow 0
		.amdhsa_exception_fp_ieee_underflow 0
		.amdhsa_exception_fp_ieee_inexact 0
		.amdhsa_exception_int_div_zero 0
	.end_amdhsa_kernel
	.section	.text._Z18warp_reduce_kernelILb1EhLj37ELj100EEvPKT0_PS0_,"axG",@progbits,_Z18warp_reduce_kernelILb1EhLj37ELj100EEvPKT0_PS0_,comdat
.Lfunc_end49:
	.size	_Z18warp_reduce_kernelILb1EhLj37ELj100EEvPKT0_PS0_, .Lfunc_end49-_Z18warp_reduce_kernelILb1EhLj37ELj100EEvPKT0_PS0_
                                        ; -- End function
	.section	.AMDGPU.csdata,"",@progbits
; Kernel info:
; codeLenInByte = 540
; NumSgprs: 19
; NumVgprs: 5
; NumAgprs: 0
; TotalNumVgprs: 5
; ScratchSize: 0
; MemoryBound: 0
; FloatMode: 240
; IeeeMode: 1
; LDSByteSize: 37 bytes/workgroup (compile time only)
; SGPRBlocks: 2
; VGPRBlocks: 0
; NumSGPRsForWavesPerEU: 19
; NumVGPRsForWavesPerEU: 5
; AccumOffset: 8
; Occupancy: 8
; WaveLimiterHint : 0
; COMPUTE_PGM_RSRC2:SCRATCH_EN: 0
; COMPUTE_PGM_RSRC2:USER_SGPR: 6
; COMPUTE_PGM_RSRC2:TRAP_HANDLER: 0
; COMPUTE_PGM_RSRC2:TGID_X_EN: 1
; COMPUTE_PGM_RSRC2:TGID_Y_EN: 0
; COMPUTE_PGM_RSRC2:TGID_Z_EN: 0
; COMPUTE_PGM_RSRC2:TIDIG_COMP_CNT: 0
; COMPUTE_PGM_RSRC3_GFX90A:ACCUM_OFFSET: 1
; COMPUTE_PGM_RSRC3_GFX90A:TG_SPLIT: 0
	.section	.text._Z18warp_reduce_kernelILb1EhLj61ELj100EEvPKT0_PS0_,"axG",@progbits,_Z18warp_reduce_kernelILb1EhLj61ELj100EEvPKT0_PS0_,comdat
	.protected	_Z18warp_reduce_kernelILb1EhLj61ELj100EEvPKT0_PS0_ ; -- Begin function _Z18warp_reduce_kernelILb1EhLj61ELj100EEvPKT0_PS0_
	.globl	_Z18warp_reduce_kernelILb1EhLj61ELj100EEvPKT0_PS0_
	.p2align	8
	.type	_Z18warp_reduce_kernelILb1EhLj61ELj100EEvPKT0_PS0_,@function
_Z18warp_reduce_kernelILb1EhLj61ELj100EEvPKT0_PS0_: ; @_Z18warp_reduce_kernelILb1EhLj61ELj100EEvPKT0_PS0_
; %bb.0:
	s_load_dword s0, s[4:5], 0x1c
	s_load_dwordx4 s[8:11], s[4:5], 0x0
	v_mbcnt_lo_u32_b32 v2, -1, 0
	v_mbcnt_hi_u32_b32 v2, -1, v2
	v_mov_b32_e32 v1, 0
	s_waitcnt lgkmcnt(0)
	s_and_b32 s0, s0, 0xffff
	s_mul_i32 s6, s6, s0
	v_add_u32_e32 v0, s6, v0
	global_load_ubyte v3, v0, s[8:9]
	s_mov_b32 s0, 0x4325c54
	v_mul_hi_u32 v4, v2, s0
	v_mul_u32_u24_e32 v4, 61, v4
	v_sub_u32_e32 v2, v2, v4
	v_cmp_gt_u32_e32 vcc, 29, v2
	v_cmp_gt_u32_e64 s[0:1], 16, v2
	v_cmp_gt_u32_e64 s[2:3], 8, v2
	;; [unrolled: 1-line block ×4, first 2 shown]
	v_cmp_eq_u32_e64 s[8:9], 0, v2
	s_movk_i32 s14, 0x64
	s_branch .LBB50_2
.LBB50_1:                               ;   in Loop: Header=BB50_2 Depth=1
	s_or_b64 exec, exec, s[12:13]
	; wave barrier
	ds_read_u8 v3, v1
	s_add_i32 s14, s14, -1
	s_cmp_eq_u32 s14, 0
	s_cbranch_scc1 .LBB50_26
.LBB50_2:                               ; =>This Inner Loop Header: Depth=1
	s_waitcnt vmcnt(0) lgkmcnt(0)
	ds_write_b8 v2, v3
	; wave barrier
	s_and_saveexec_b64 s[12:13], vcc
	s_cbranch_execz .LBB50_4
; %bb.3:                                ;   in Loop: Header=BB50_2 Depth=1
	ds_read_u8 v3, v2
	ds_read_u8 v4, v2 offset:32
	s_waitcnt lgkmcnt(0)
	v_add_u16_e32 v3, v4, v3
.LBB50_4:                               ;   in Loop: Header=BB50_2 Depth=1
	s_or_b64 exec, exec, s[12:13]
	; wave barrier
	s_and_saveexec_b64 s[12:13], vcc
	s_cbranch_execz .LBB50_6
; %bb.5:                                ;   in Loop: Header=BB50_2 Depth=1
	ds_write_b8 v2, v3
.LBB50_6:                               ;   in Loop: Header=BB50_2 Depth=1
	s_or_b64 exec, exec, s[12:13]
	; wave barrier
	s_and_saveexec_b64 s[12:13], s[0:1]
	s_cbranch_execz .LBB50_8
; %bb.7:                                ;   in Loop: Header=BB50_2 Depth=1
	ds_read_u8 v3, v2
	ds_read_u8 v4, v2 offset:16
	s_waitcnt lgkmcnt(0)
	v_add_u16_e32 v3, v4, v3
.LBB50_8:                               ;   in Loop: Header=BB50_2 Depth=1
	s_or_b64 exec, exec, s[12:13]
	; wave barrier
	s_and_saveexec_b64 s[12:13], s[0:1]
	s_cbranch_execz .LBB50_10
; %bb.9:                                ;   in Loop: Header=BB50_2 Depth=1
	ds_write_b8 v2, v3
.LBB50_10:                              ;   in Loop: Header=BB50_2 Depth=1
	s_or_b64 exec, exec, s[12:13]
	; wave barrier
	s_and_saveexec_b64 s[12:13], s[2:3]
	s_cbranch_execz .LBB50_12
; %bb.11:                               ;   in Loop: Header=BB50_2 Depth=1
	ds_read_u8 v3, v2
	ds_read_u8 v4, v2 offset:8
	s_waitcnt lgkmcnt(0)
	v_add_u16_e32 v3, v4, v3
.LBB50_12:                              ;   in Loop: Header=BB50_2 Depth=1
	s_or_b64 exec, exec, s[12:13]
	; wave barrier
	s_and_saveexec_b64 s[12:13], s[2:3]
	s_cbranch_execz .LBB50_14
; %bb.13:                               ;   in Loop: Header=BB50_2 Depth=1
	ds_write_b8 v2, v3
.LBB50_14:                              ;   in Loop: Header=BB50_2 Depth=1
	s_or_b64 exec, exec, s[12:13]
	; wave barrier
	s_and_saveexec_b64 s[12:13], s[4:5]
	s_cbranch_execz .LBB50_16
; %bb.15:                               ;   in Loop: Header=BB50_2 Depth=1
	ds_read_u8 v3, v2
	ds_read_u8 v4, v2 offset:4
	s_waitcnt lgkmcnt(0)
	v_add_u16_e32 v3, v4, v3
.LBB50_16:                              ;   in Loop: Header=BB50_2 Depth=1
	s_or_b64 exec, exec, s[12:13]
	; wave barrier
	s_and_saveexec_b64 s[12:13], s[4:5]
	s_cbranch_execz .LBB50_18
; %bb.17:                               ;   in Loop: Header=BB50_2 Depth=1
	ds_write_b8 v2, v3
.LBB50_18:                              ;   in Loop: Header=BB50_2 Depth=1
	;; [unrolled: 17-line block ×3, first 2 shown]
	s_or_b64 exec, exec, s[12:13]
	; wave barrier
	s_and_saveexec_b64 s[12:13], s[8:9]
	s_cbranch_execz .LBB50_24
; %bb.23:                               ;   in Loop: Header=BB50_2 Depth=1
	ds_read_u8 v3, v2
	ds_read_u8 v4, v1 offset:1
	s_waitcnt lgkmcnt(0)
	v_add_u16_e32 v3, v4, v3
.LBB50_24:                              ;   in Loop: Header=BB50_2 Depth=1
	s_or_b64 exec, exec, s[12:13]
	; wave barrier
	s_and_saveexec_b64 s[12:13], s[8:9]
	s_cbranch_execz .LBB50_1
; %bb.25:                               ;   in Loop: Header=BB50_2 Depth=1
	ds_write_b8 v2, v3
	s_branch .LBB50_1
.LBB50_26:
	v_mov_b32_e32 v1, s11
	v_add_co_u32_e32 v0, vcc, s10, v0
	v_addc_co_u32_e32 v1, vcc, 0, v1, vcc
	s_waitcnt lgkmcnt(0)
	global_store_byte v[0:1], v3, off
	s_endpgm
	.section	.rodata,"a",@progbits
	.p2align	6, 0x0
	.amdhsa_kernel _Z18warp_reduce_kernelILb1EhLj61ELj100EEvPKT0_PS0_
		.amdhsa_group_segment_fixed_size 61
		.amdhsa_private_segment_fixed_size 0
		.amdhsa_kernarg_size 272
		.amdhsa_user_sgpr_count 6
		.amdhsa_user_sgpr_private_segment_buffer 1
		.amdhsa_user_sgpr_dispatch_ptr 0
		.amdhsa_user_sgpr_queue_ptr 0
		.amdhsa_user_sgpr_kernarg_segment_ptr 1
		.amdhsa_user_sgpr_dispatch_id 0
		.amdhsa_user_sgpr_flat_scratch_init 0
		.amdhsa_user_sgpr_kernarg_preload_length 0
		.amdhsa_user_sgpr_kernarg_preload_offset 0
		.amdhsa_user_sgpr_private_segment_size 0
		.amdhsa_uses_dynamic_stack 0
		.amdhsa_system_sgpr_private_segment_wavefront_offset 0
		.amdhsa_system_sgpr_workgroup_id_x 1
		.amdhsa_system_sgpr_workgroup_id_y 0
		.amdhsa_system_sgpr_workgroup_id_z 0
		.amdhsa_system_sgpr_workgroup_info 0
		.amdhsa_system_vgpr_workitem_id 0
		.amdhsa_next_free_vgpr 5
		.amdhsa_next_free_sgpr 15
		.amdhsa_accum_offset 8
		.amdhsa_reserve_vcc 1
		.amdhsa_reserve_flat_scratch 0
		.amdhsa_float_round_mode_32 0
		.amdhsa_float_round_mode_16_64 0
		.amdhsa_float_denorm_mode_32 3
		.amdhsa_float_denorm_mode_16_64 3
		.amdhsa_dx10_clamp 1
		.amdhsa_ieee_mode 1
		.amdhsa_fp16_overflow 0
		.amdhsa_tg_split 0
		.amdhsa_exception_fp_ieee_invalid_op 0
		.amdhsa_exception_fp_denorm_src 0
		.amdhsa_exception_fp_ieee_div_zero 0
		.amdhsa_exception_fp_ieee_overflow 0
		.amdhsa_exception_fp_ieee_underflow 0
		.amdhsa_exception_fp_ieee_inexact 0
		.amdhsa_exception_int_div_zero 0
	.end_amdhsa_kernel
	.section	.text._Z18warp_reduce_kernelILb1EhLj61ELj100EEvPKT0_PS0_,"axG",@progbits,_Z18warp_reduce_kernelILb1EhLj61ELj100EEvPKT0_PS0_,comdat
.Lfunc_end50:
	.size	_Z18warp_reduce_kernelILb1EhLj61ELj100EEvPKT0_PS0_, .Lfunc_end50-_Z18warp_reduce_kernelILb1EhLj61ELj100EEvPKT0_PS0_
                                        ; -- End function
	.section	.AMDGPU.csdata,"",@progbits
; Kernel info:
; codeLenInByte = 540
; NumSgprs: 19
; NumVgprs: 5
; NumAgprs: 0
; TotalNumVgprs: 5
; ScratchSize: 0
; MemoryBound: 0
; FloatMode: 240
; IeeeMode: 1
; LDSByteSize: 61 bytes/workgroup (compile time only)
; SGPRBlocks: 2
; VGPRBlocks: 0
; NumSGPRsForWavesPerEU: 19
; NumVGPRsForWavesPerEU: 5
; AccumOffset: 8
; Occupancy: 8
; WaveLimiterHint : 0
; COMPUTE_PGM_RSRC2:SCRATCH_EN: 0
; COMPUTE_PGM_RSRC2:USER_SGPR: 6
; COMPUTE_PGM_RSRC2:TRAP_HANDLER: 0
; COMPUTE_PGM_RSRC2:TGID_X_EN: 1
; COMPUTE_PGM_RSRC2:TGID_Y_EN: 0
; COMPUTE_PGM_RSRC2:TGID_Z_EN: 0
; COMPUTE_PGM_RSRC2:TIDIG_COMP_CNT: 0
; COMPUTE_PGM_RSRC3_GFX90A:ACCUM_OFFSET: 1
; COMPUTE_PGM_RSRC3_GFX90A:TG_SPLIT: 0
	.section	.text._Z18warp_reduce_kernelILb1EhLj64ELj100EEvPKT0_PS0_,"axG",@progbits,_Z18warp_reduce_kernelILb1EhLj64ELj100EEvPKT0_PS0_,comdat
	.protected	_Z18warp_reduce_kernelILb1EhLj64ELj100EEvPKT0_PS0_ ; -- Begin function _Z18warp_reduce_kernelILb1EhLj64ELj100EEvPKT0_PS0_
	.globl	_Z18warp_reduce_kernelILb1EhLj64ELj100EEvPKT0_PS0_
	.p2align	8
	.type	_Z18warp_reduce_kernelILb1EhLj64ELj100EEvPKT0_PS0_,@function
_Z18warp_reduce_kernelILb1EhLj64ELj100EEvPKT0_PS0_: ; @_Z18warp_reduce_kernelILb1EhLj64ELj100EEvPKT0_PS0_
; %bb.0:
	s_load_dword s7, s[4:5], 0x1c
	s_load_dwordx4 s[0:3], s[4:5], 0x0
	v_mbcnt_lo_u32_b32 v1, -1, 0
	v_mbcnt_hi_u32_b32 v1, -1, v1
	v_bfrev_b32_e32 v3, 0.5
	s_waitcnt lgkmcnt(0)
	s_and_b32 s4, s7, 0xffff
	s_mul_i32 s6, s6, s4
	v_add_u32_e32 v0, s6, v0
	global_load_ubyte v2, v0, s[0:1]
	v_lshl_or_b32 v1, v1, 2, v3
	s_movk_i32 s0, 0x64
.LBB51_1:                               ; =>This Inner Loop Header: Depth=1
	s_waitcnt vmcnt(0) lgkmcnt(0)
	v_and_b32_e32 v3, 0xff, v2
	s_add_i32 s0, s0, -1
	s_cmp_eq_u32 s0, 0
	v_mov_b32_dpp v3, v3 quad_perm:[1,0,3,2] row_mask:0xf bank_mask:0xf
	v_add_u16_e32 v2, v2, v3
	v_and_b32_e32 v3, 0xff, v2
	s_nop 1
	v_mov_b32_dpp v3, v3 quad_perm:[2,3,0,1] row_mask:0xf bank_mask:0xf
	v_add_u16_e32 v2, v2, v3
	v_and_b32_e32 v3, 0xff, v2
	s_nop 1
	v_mov_b32_dpp v3, v3 row_ror:4 row_mask:0xf bank_mask:0xf
	v_add_u16_e32 v2, v2, v3
	v_and_b32_e32 v3, 0xff, v2
	s_nop 1
	v_mov_b32_dpp v3, v3 row_ror:8 row_mask:0xf bank_mask:0xf
	v_add_u16_e32 v2, v2, v3
	v_and_b32_e32 v3, 0xff, v2
	s_nop 1
	v_mov_b32_dpp v3, v3 row_bcast:15 row_mask:0xf bank_mask:0xf
	v_add_u16_e32 v2, v2, v3
	v_and_b32_e32 v3, 0xff, v2
	s_nop 1
	v_mov_b32_dpp v3, v3 row_bcast:31 row_mask:0xf bank_mask:0xf
	v_add_u16_e32 v2, v2, v3
	v_and_b32_e32 v2, 0xff, v2
	ds_bpermute_b32 v2, v1, v2
	s_cbranch_scc0 .LBB51_1
; %bb.2:
	v_mov_b32_e32 v1, s3
	v_add_co_u32_e32 v0, vcc, s2, v0
	v_addc_co_u32_e32 v1, vcc, 0, v1, vcc
	s_waitcnt lgkmcnt(0)
	global_store_byte v[0:1], v2, off
	s_endpgm
	.section	.rodata,"a",@progbits
	.p2align	6, 0x0
	.amdhsa_kernel _Z18warp_reduce_kernelILb1EhLj64ELj100EEvPKT0_PS0_
		.amdhsa_group_segment_fixed_size 0
		.amdhsa_private_segment_fixed_size 0
		.amdhsa_kernarg_size 272
		.amdhsa_user_sgpr_count 6
		.amdhsa_user_sgpr_private_segment_buffer 1
		.amdhsa_user_sgpr_dispatch_ptr 0
		.amdhsa_user_sgpr_queue_ptr 0
		.amdhsa_user_sgpr_kernarg_segment_ptr 1
		.amdhsa_user_sgpr_dispatch_id 0
		.amdhsa_user_sgpr_flat_scratch_init 0
		.amdhsa_user_sgpr_kernarg_preload_length 0
		.amdhsa_user_sgpr_kernarg_preload_offset 0
		.amdhsa_user_sgpr_private_segment_size 0
		.amdhsa_uses_dynamic_stack 0
		.amdhsa_system_sgpr_private_segment_wavefront_offset 0
		.amdhsa_system_sgpr_workgroup_id_x 1
		.amdhsa_system_sgpr_workgroup_id_y 0
		.amdhsa_system_sgpr_workgroup_id_z 0
		.amdhsa_system_sgpr_workgroup_info 0
		.amdhsa_system_vgpr_workitem_id 0
		.amdhsa_next_free_vgpr 4
		.amdhsa_next_free_sgpr 8
		.amdhsa_accum_offset 4
		.amdhsa_reserve_vcc 1
		.amdhsa_reserve_flat_scratch 0
		.amdhsa_float_round_mode_32 0
		.amdhsa_float_round_mode_16_64 0
		.amdhsa_float_denorm_mode_32 3
		.amdhsa_float_denorm_mode_16_64 3
		.amdhsa_dx10_clamp 1
		.amdhsa_ieee_mode 1
		.amdhsa_fp16_overflow 0
		.amdhsa_tg_split 0
		.amdhsa_exception_fp_ieee_invalid_op 0
		.amdhsa_exception_fp_denorm_src 0
		.amdhsa_exception_fp_ieee_div_zero 0
		.amdhsa_exception_fp_ieee_overflow 0
		.amdhsa_exception_fp_ieee_underflow 0
		.amdhsa_exception_fp_ieee_inexact 0
		.amdhsa_exception_int_div_zero 0
	.end_amdhsa_kernel
	.section	.text._Z18warp_reduce_kernelILb1EhLj64ELj100EEvPKT0_PS0_,"axG",@progbits,_Z18warp_reduce_kernelILb1EhLj64ELj100EEvPKT0_PS0_,comdat
.Lfunc_end51:
	.size	_Z18warp_reduce_kernelILb1EhLj64ELj100EEvPKT0_PS0_, .Lfunc_end51-_Z18warp_reduce_kernelILb1EhLj64ELj100EEvPKT0_PS0_
                                        ; -- End function
	.section	.AMDGPU.csdata,"",@progbits
; Kernel info:
; codeLenInByte = 276
; NumSgprs: 12
; NumVgprs: 4
; NumAgprs: 0
; TotalNumVgprs: 4
; ScratchSize: 0
; MemoryBound: 0
; FloatMode: 240
; IeeeMode: 1
; LDSByteSize: 0 bytes/workgroup (compile time only)
; SGPRBlocks: 1
; VGPRBlocks: 0
; NumSGPRsForWavesPerEU: 12
; NumVGPRsForWavesPerEU: 4
; AccumOffset: 4
; Occupancy: 8
; WaveLimiterHint : 0
; COMPUTE_PGM_RSRC2:SCRATCH_EN: 0
; COMPUTE_PGM_RSRC2:USER_SGPR: 6
; COMPUTE_PGM_RSRC2:TRAP_HANDLER: 0
; COMPUTE_PGM_RSRC2:TGID_X_EN: 1
; COMPUTE_PGM_RSRC2:TGID_Y_EN: 0
; COMPUTE_PGM_RSRC2:TGID_Z_EN: 0
; COMPUTE_PGM_RSRC2:TIDIG_COMP_CNT: 0
; COMPUTE_PGM_RSRC3_GFX90A:ACCUM_OFFSET: 0
; COMPUTE_PGM_RSRC3_GFX90A:TG_SPLIT: 0
	.section	.text._Z18warp_reduce_kernelILb1E6__halfLj32ELj100EEvPKT0_PS1_,"axG",@progbits,_Z18warp_reduce_kernelILb1E6__halfLj32ELj100EEvPKT0_PS1_,comdat
	.protected	_Z18warp_reduce_kernelILb1E6__halfLj32ELj100EEvPKT0_PS1_ ; -- Begin function _Z18warp_reduce_kernelILb1E6__halfLj32ELj100EEvPKT0_PS1_
	.globl	_Z18warp_reduce_kernelILb1E6__halfLj32ELj100EEvPKT0_PS1_
	.p2align	8
	.type	_Z18warp_reduce_kernelILb1E6__halfLj32ELj100EEvPKT0_PS1_,@function
_Z18warp_reduce_kernelILb1E6__halfLj32ELj100EEvPKT0_PS1_: ; @_Z18warp_reduce_kernelILb1E6__halfLj32ELj100EEvPKT0_PS1_
; %bb.0:
	s_load_dword s7, s[4:5], 0x1c
	s_load_dwordx4 s[0:3], s[4:5], 0x0
	v_mov_b32_e32 v1, 0
	s_waitcnt lgkmcnt(0)
	s_and_b32 s4, s7, 0xffff
	s_mul_i32 s6, s6, s4
	v_add_u32_e32 v0, s6, v0
	v_lshlrev_b64 v[0:1], 1, v[0:1]
	v_mov_b32_e32 v3, s1
	v_add_co_u32_e32 v2, vcc, s0, v0
	v_addc_co_u32_e32 v3, vcc, v3, v1, vcc
	global_load_ushort v2, v[2:3], off
	v_mbcnt_lo_u32_b32 v3, -1, 0
	v_mbcnt_hi_u32_b32 v8, -1, v3
	v_and_b32_e32 v7, 31, v8
	v_cmp_ne_u32_e32 vcc, 31, v7
	v_addc_co_u32_e32 v3, vcc, 0, v8, vcc
	v_cmp_gt_u32_e32 vcc, 30, v7
	v_cndmask_b32_e64 v4, 0, 1, vcc
	v_cmp_gt_u32_e32 vcc, 28, v7
	v_cndmask_b32_e64 v5, 0, 1, vcc
	;; [unrolled: 2-line block ×4, first 2 shown]
	v_lshlrev_b32_e32 v4, 1, v4
	v_lshlrev_b32_e32 v5, 2, v5
	;; [unrolled: 1-line block ×4, first 2 shown]
	v_add_lshl_u32 v4, v4, v8, 2
	v_add_lshl_u32 v5, v5, v8, 2
	;; [unrolled: 1-line block ×4, first 2 shown]
	v_lshlrev_b32_e32 v8, 2, v8
	v_lshlrev_b32_e32 v3, 2, v3
	v_and_b32_e32 v8, 0x180, v8
	s_movk_i32 s0, 0x64
.LBB52_1:                               ; =>This Inner Loop Header: Depth=1
	s_waitcnt vmcnt(0) lgkmcnt(0)
	v_and_b32_e32 v9, 0xffff, v2
	ds_bpermute_b32 v9, v3, v9
	s_add_i32 s0, s0, -1
	s_cmp_eq_u32 s0, 0
	s_waitcnt lgkmcnt(0)
	v_add_f16_e32 v2, v2, v9
	ds_bpermute_b32 v9, v4, v2
	s_waitcnt lgkmcnt(0)
	v_add_f16_e32 v2, v2, v9
	ds_bpermute_b32 v9, v5, v2
	;; [unrolled: 3-line block ×5, first 2 shown]
	s_cbranch_scc0 .LBB52_1
; %bb.2:
	v_mov_b32_e32 v3, s3
	v_add_co_u32_e32 v0, vcc, s2, v0
	v_addc_co_u32_e32 v1, vcc, v3, v1, vcc
	s_waitcnt lgkmcnt(0)
	global_store_short v[0:1], v2, off
	s_endpgm
	.section	.rodata,"a",@progbits
	.p2align	6, 0x0
	.amdhsa_kernel _Z18warp_reduce_kernelILb1E6__halfLj32ELj100EEvPKT0_PS1_
		.amdhsa_group_segment_fixed_size 0
		.amdhsa_private_segment_fixed_size 0
		.amdhsa_kernarg_size 272
		.amdhsa_user_sgpr_count 6
		.amdhsa_user_sgpr_private_segment_buffer 1
		.amdhsa_user_sgpr_dispatch_ptr 0
		.amdhsa_user_sgpr_queue_ptr 0
		.amdhsa_user_sgpr_kernarg_segment_ptr 1
		.amdhsa_user_sgpr_dispatch_id 0
		.amdhsa_user_sgpr_flat_scratch_init 0
		.amdhsa_user_sgpr_kernarg_preload_length 0
		.amdhsa_user_sgpr_kernarg_preload_offset 0
		.amdhsa_user_sgpr_private_segment_size 0
		.amdhsa_uses_dynamic_stack 0
		.amdhsa_system_sgpr_private_segment_wavefront_offset 0
		.amdhsa_system_sgpr_workgroup_id_x 1
		.amdhsa_system_sgpr_workgroup_id_y 0
		.amdhsa_system_sgpr_workgroup_id_z 0
		.amdhsa_system_sgpr_workgroup_info 0
		.amdhsa_system_vgpr_workitem_id 0
		.amdhsa_next_free_vgpr 10
		.amdhsa_next_free_sgpr 8
		.amdhsa_accum_offset 12
		.amdhsa_reserve_vcc 1
		.amdhsa_reserve_flat_scratch 0
		.amdhsa_float_round_mode_32 0
		.amdhsa_float_round_mode_16_64 0
		.amdhsa_float_denorm_mode_32 3
		.amdhsa_float_denorm_mode_16_64 3
		.amdhsa_dx10_clamp 1
		.amdhsa_ieee_mode 1
		.amdhsa_fp16_overflow 0
		.amdhsa_tg_split 0
		.amdhsa_exception_fp_ieee_invalid_op 0
		.amdhsa_exception_fp_denorm_src 0
		.amdhsa_exception_fp_ieee_div_zero 0
		.amdhsa_exception_fp_ieee_overflow 0
		.amdhsa_exception_fp_ieee_underflow 0
		.amdhsa_exception_fp_ieee_inexact 0
		.amdhsa_exception_int_div_zero 0
	.end_amdhsa_kernel
	.section	.text._Z18warp_reduce_kernelILb1E6__halfLj32ELj100EEvPKT0_PS1_,"axG",@progbits,_Z18warp_reduce_kernelILb1E6__halfLj32ELj100EEvPKT0_PS1_,comdat
.Lfunc_end52:
	.size	_Z18warp_reduce_kernelILb1E6__halfLj32ELj100EEvPKT0_PS1_, .Lfunc_end52-_Z18warp_reduce_kernelILb1E6__halfLj32ELj100EEvPKT0_PS1_
                                        ; -- End function
	.section	.AMDGPU.csdata,"",@progbits
; Kernel info:
; codeLenInByte = 352
; NumSgprs: 12
; NumVgprs: 10
; NumAgprs: 0
; TotalNumVgprs: 10
; ScratchSize: 0
; MemoryBound: 0
; FloatMode: 240
; IeeeMode: 1
; LDSByteSize: 0 bytes/workgroup (compile time only)
; SGPRBlocks: 1
; VGPRBlocks: 1
; NumSGPRsForWavesPerEU: 12
; NumVGPRsForWavesPerEU: 10
; AccumOffset: 12
; Occupancy: 8
; WaveLimiterHint : 0
; COMPUTE_PGM_RSRC2:SCRATCH_EN: 0
; COMPUTE_PGM_RSRC2:USER_SGPR: 6
; COMPUTE_PGM_RSRC2:TRAP_HANDLER: 0
; COMPUTE_PGM_RSRC2:TGID_X_EN: 1
; COMPUTE_PGM_RSRC2:TGID_Y_EN: 0
; COMPUTE_PGM_RSRC2:TGID_Z_EN: 0
; COMPUTE_PGM_RSRC2:TIDIG_COMP_CNT: 0
; COMPUTE_PGM_RSRC3_GFX90A:ACCUM_OFFSET: 2
; COMPUTE_PGM_RSRC3_GFX90A:TG_SPLIT: 0
	.section	.text._Z18warp_reduce_kernelILb1E6__halfLj37ELj100EEvPKT0_PS1_,"axG",@progbits,_Z18warp_reduce_kernelILb1E6__halfLj37ELj100EEvPKT0_PS1_,comdat
	.protected	_Z18warp_reduce_kernelILb1E6__halfLj37ELj100EEvPKT0_PS1_ ; -- Begin function _Z18warp_reduce_kernelILb1E6__halfLj37ELj100EEvPKT0_PS1_
	.globl	_Z18warp_reduce_kernelILb1E6__halfLj37ELj100EEvPKT0_PS1_
	.p2align	8
	.type	_Z18warp_reduce_kernelILb1E6__halfLj37ELj100EEvPKT0_PS1_,@function
_Z18warp_reduce_kernelILb1E6__halfLj37ELj100EEvPKT0_PS1_: ; @_Z18warp_reduce_kernelILb1E6__halfLj37ELj100EEvPKT0_PS1_
; %bb.0:
	s_load_dword s0, s[4:5], 0x1c
	s_load_dwordx4 s[8:11], s[4:5], 0x0
	v_mov_b32_e32 v1, 0
	s_movk_i32 s14, 0x64
	s_waitcnt lgkmcnt(0)
	s_and_b32 s0, s0, 0xffff
	s_mul_i32 s6, s6, s0
	v_add_u32_e32 v0, s6, v0
	v_lshlrev_b64 v[2:3], 1, v[0:1]
	v_mov_b32_e32 v0, s9
	v_add_co_u32_e32 v4, vcc, s8, v2
	v_addc_co_u32_e32 v5, vcc, v0, v3, vcc
	global_load_ushort v4, v[4:5], off
	v_mbcnt_lo_u32_b32 v0, -1, 0
	v_mbcnt_hi_u32_b32 v0, -1, v0
	s_mov_b32 s0, 0x6eb3e46
	v_mul_hi_u32 v5, v0, s0
	v_mul_u32_u24_e32 v5, 37, v5
	v_sub_u32_e32 v5, v0, v5
	v_lshlrev_b32_e32 v0, 1, v5
	v_cmp_gt_u32_e32 vcc, 5, v5
	v_cmp_gt_u32_e64 s[0:1], 16, v5
	v_cmp_gt_u32_e64 s[2:3], 8, v5
	;; [unrolled: 1-line block ×4, first 2 shown]
	v_cmp_eq_u32_e64 s[8:9], 0, v5
	s_branch .LBB53_2
.LBB53_1:                               ;   in Loop: Header=BB53_2 Depth=1
	s_or_b64 exec, exec, s[12:13]
	; wave barrier
	ds_read_u16 v4, v1
	s_add_i32 s14, s14, -1
	s_cmp_eq_u32 s14, 0
	s_cbranch_scc1 .LBB53_26
.LBB53_2:                               ; =>This Inner Loop Header: Depth=1
	s_waitcnt vmcnt(0) lgkmcnt(0)
	ds_write_b16 v0, v4
	; wave barrier
	s_and_saveexec_b64 s[12:13], vcc
	s_cbranch_execz .LBB53_4
; %bb.3:                                ;   in Loop: Header=BB53_2 Depth=1
	ds_read_u16 v4, v0
	ds_read_u16 v5, v0 offset:64
	s_waitcnt lgkmcnt(0)
	v_add_f16_e32 v4, v4, v5
.LBB53_4:                               ;   in Loop: Header=BB53_2 Depth=1
	s_or_b64 exec, exec, s[12:13]
	; wave barrier
	s_and_saveexec_b64 s[12:13], vcc
	s_cbranch_execz .LBB53_6
; %bb.5:                                ;   in Loop: Header=BB53_2 Depth=1
	ds_write_b16 v0, v4
.LBB53_6:                               ;   in Loop: Header=BB53_2 Depth=1
	s_or_b64 exec, exec, s[12:13]
	; wave barrier
	s_and_saveexec_b64 s[12:13], s[0:1]
	s_cbranch_execz .LBB53_8
; %bb.7:                                ;   in Loop: Header=BB53_2 Depth=1
	ds_read_u16 v4, v0
	ds_read_u16 v5, v0 offset:32
	s_waitcnt lgkmcnt(0)
	v_add_f16_e32 v4, v4, v5
.LBB53_8:                               ;   in Loop: Header=BB53_2 Depth=1
	s_or_b64 exec, exec, s[12:13]
	; wave barrier
	s_and_saveexec_b64 s[12:13], s[0:1]
	s_cbranch_execz .LBB53_10
; %bb.9:                                ;   in Loop: Header=BB53_2 Depth=1
	ds_write_b16 v0, v4
.LBB53_10:                              ;   in Loop: Header=BB53_2 Depth=1
	s_or_b64 exec, exec, s[12:13]
	; wave barrier
	s_and_saveexec_b64 s[12:13], s[2:3]
	s_cbranch_execz .LBB53_12
; %bb.11:                               ;   in Loop: Header=BB53_2 Depth=1
	ds_read_u16 v4, v0
	ds_read_u16 v5, v0 offset:16
	s_waitcnt lgkmcnt(0)
	v_add_f16_e32 v4, v4, v5
.LBB53_12:                              ;   in Loop: Header=BB53_2 Depth=1
	s_or_b64 exec, exec, s[12:13]
	; wave barrier
	s_and_saveexec_b64 s[12:13], s[2:3]
	s_cbranch_execz .LBB53_14
; %bb.13:                               ;   in Loop: Header=BB53_2 Depth=1
	ds_write_b16 v0, v4
.LBB53_14:                              ;   in Loop: Header=BB53_2 Depth=1
	s_or_b64 exec, exec, s[12:13]
	; wave barrier
	s_and_saveexec_b64 s[12:13], s[4:5]
	s_cbranch_execz .LBB53_16
; %bb.15:                               ;   in Loop: Header=BB53_2 Depth=1
	ds_read_u16 v4, v0
	ds_read_u16 v5, v0 offset:8
	s_waitcnt lgkmcnt(0)
	v_add_f16_e32 v4, v4, v5
.LBB53_16:                              ;   in Loop: Header=BB53_2 Depth=1
	s_or_b64 exec, exec, s[12:13]
	; wave barrier
	s_and_saveexec_b64 s[12:13], s[4:5]
	s_cbranch_execz .LBB53_18
; %bb.17:                               ;   in Loop: Header=BB53_2 Depth=1
	ds_write_b16 v0, v4
.LBB53_18:                              ;   in Loop: Header=BB53_2 Depth=1
	;; [unrolled: 17-line block ×3, first 2 shown]
	s_or_b64 exec, exec, s[12:13]
	; wave barrier
	s_and_saveexec_b64 s[12:13], s[8:9]
	s_cbranch_execz .LBB53_24
; %bb.23:                               ;   in Loop: Header=BB53_2 Depth=1
	ds_read_u16 v4, v0
	ds_read_u16 v5, v1 offset:2
	s_waitcnt lgkmcnt(0)
	v_add_f16_e32 v4, v4, v5
.LBB53_24:                              ;   in Loop: Header=BB53_2 Depth=1
	s_or_b64 exec, exec, s[12:13]
	; wave barrier
	s_and_saveexec_b64 s[12:13], s[8:9]
	s_cbranch_execz .LBB53_1
; %bb.25:                               ;   in Loop: Header=BB53_2 Depth=1
	ds_write_b16 v0, v4
	s_branch .LBB53_1
.LBB53_26:
	v_mov_b32_e32 v1, s11
	v_add_co_u32_e32 v0, vcc, s10, v2
	v_addc_co_u32_e32 v1, vcc, v1, v3, vcc
	s_waitcnt lgkmcnt(0)
	global_store_short v[0:1], v4, off
	s_endpgm
	.section	.rodata,"a",@progbits
	.p2align	6, 0x0
	.amdhsa_kernel _Z18warp_reduce_kernelILb1E6__halfLj37ELj100EEvPKT0_PS1_
		.amdhsa_group_segment_fixed_size 74
		.amdhsa_private_segment_fixed_size 0
		.amdhsa_kernarg_size 272
		.amdhsa_user_sgpr_count 6
		.amdhsa_user_sgpr_private_segment_buffer 1
		.amdhsa_user_sgpr_dispatch_ptr 0
		.amdhsa_user_sgpr_queue_ptr 0
		.amdhsa_user_sgpr_kernarg_segment_ptr 1
		.amdhsa_user_sgpr_dispatch_id 0
		.amdhsa_user_sgpr_flat_scratch_init 0
		.amdhsa_user_sgpr_kernarg_preload_length 0
		.amdhsa_user_sgpr_kernarg_preload_offset 0
		.amdhsa_user_sgpr_private_segment_size 0
		.amdhsa_uses_dynamic_stack 0
		.amdhsa_system_sgpr_private_segment_wavefront_offset 0
		.amdhsa_system_sgpr_workgroup_id_x 1
		.amdhsa_system_sgpr_workgroup_id_y 0
		.amdhsa_system_sgpr_workgroup_id_z 0
		.amdhsa_system_sgpr_workgroup_info 0
		.amdhsa_system_vgpr_workitem_id 0
		.amdhsa_next_free_vgpr 6
		.amdhsa_next_free_sgpr 15
		.amdhsa_accum_offset 8
		.amdhsa_reserve_vcc 1
		.amdhsa_reserve_flat_scratch 0
		.amdhsa_float_round_mode_32 0
		.amdhsa_float_round_mode_16_64 0
		.amdhsa_float_denorm_mode_32 3
		.amdhsa_float_denorm_mode_16_64 3
		.amdhsa_dx10_clamp 1
		.amdhsa_ieee_mode 1
		.amdhsa_fp16_overflow 0
		.amdhsa_tg_split 0
		.amdhsa_exception_fp_ieee_invalid_op 0
		.amdhsa_exception_fp_denorm_src 0
		.amdhsa_exception_fp_ieee_div_zero 0
		.amdhsa_exception_fp_ieee_overflow 0
		.amdhsa_exception_fp_ieee_underflow 0
		.amdhsa_exception_fp_ieee_inexact 0
		.amdhsa_exception_int_div_zero 0
	.end_amdhsa_kernel
	.section	.text._Z18warp_reduce_kernelILb1E6__halfLj37ELj100EEvPKT0_PS1_,"axG",@progbits,_Z18warp_reduce_kernelILb1E6__halfLj37ELj100EEvPKT0_PS1_,comdat
.Lfunc_end53:
	.size	_Z18warp_reduce_kernelILb1E6__halfLj37ELj100EEvPKT0_PS1_, .Lfunc_end53-_Z18warp_reduce_kernelILb1E6__halfLj37ELj100EEvPKT0_PS1_
                                        ; -- End function
	.section	.AMDGPU.csdata,"",@progbits
; Kernel info:
; codeLenInByte = 564
; NumSgprs: 19
; NumVgprs: 6
; NumAgprs: 0
; TotalNumVgprs: 6
; ScratchSize: 0
; MemoryBound: 0
; FloatMode: 240
; IeeeMode: 1
; LDSByteSize: 74 bytes/workgroup (compile time only)
; SGPRBlocks: 2
; VGPRBlocks: 0
; NumSGPRsForWavesPerEU: 19
; NumVGPRsForWavesPerEU: 6
; AccumOffset: 8
; Occupancy: 8
; WaveLimiterHint : 0
; COMPUTE_PGM_RSRC2:SCRATCH_EN: 0
; COMPUTE_PGM_RSRC2:USER_SGPR: 6
; COMPUTE_PGM_RSRC2:TRAP_HANDLER: 0
; COMPUTE_PGM_RSRC2:TGID_X_EN: 1
; COMPUTE_PGM_RSRC2:TGID_Y_EN: 0
; COMPUTE_PGM_RSRC2:TGID_Z_EN: 0
; COMPUTE_PGM_RSRC2:TIDIG_COMP_CNT: 0
; COMPUTE_PGM_RSRC3_GFX90A:ACCUM_OFFSET: 1
; COMPUTE_PGM_RSRC3_GFX90A:TG_SPLIT: 0
	.section	.text._Z18warp_reduce_kernelILb1E6__halfLj61ELj100EEvPKT0_PS1_,"axG",@progbits,_Z18warp_reduce_kernelILb1E6__halfLj61ELj100EEvPKT0_PS1_,comdat
	.protected	_Z18warp_reduce_kernelILb1E6__halfLj61ELj100EEvPKT0_PS1_ ; -- Begin function _Z18warp_reduce_kernelILb1E6__halfLj61ELj100EEvPKT0_PS1_
	.globl	_Z18warp_reduce_kernelILb1E6__halfLj61ELj100EEvPKT0_PS1_
	.p2align	8
	.type	_Z18warp_reduce_kernelILb1E6__halfLj61ELj100EEvPKT0_PS1_,@function
_Z18warp_reduce_kernelILb1E6__halfLj61ELj100EEvPKT0_PS1_: ; @_Z18warp_reduce_kernelILb1E6__halfLj61ELj100EEvPKT0_PS1_
; %bb.0:
	s_load_dword s0, s[4:5], 0x1c
	s_load_dwordx4 s[8:11], s[4:5], 0x0
	v_mov_b32_e32 v1, 0
	s_movk_i32 s14, 0x64
	s_waitcnt lgkmcnt(0)
	s_and_b32 s0, s0, 0xffff
	s_mul_i32 s6, s6, s0
	v_add_u32_e32 v0, s6, v0
	v_lshlrev_b64 v[2:3], 1, v[0:1]
	v_mov_b32_e32 v0, s9
	v_add_co_u32_e32 v4, vcc, s8, v2
	v_addc_co_u32_e32 v5, vcc, v0, v3, vcc
	global_load_ushort v4, v[4:5], off
	v_mbcnt_lo_u32_b32 v0, -1, 0
	v_mbcnt_hi_u32_b32 v0, -1, v0
	s_mov_b32 s0, 0x4325c54
	v_mul_hi_u32 v5, v0, s0
	v_mul_u32_u24_e32 v5, 61, v5
	v_sub_u32_e32 v5, v0, v5
	v_lshlrev_b32_e32 v0, 1, v5
	v_cmp_gt_u32_e32 vcc, 29, v5
	v_cmp_gt_u32_e64 s[0:1], 16, v5
	v_cmp_gt_u32_e64 s[2:3], 8, v5
	;; [unrolled: 1-line block ×4, first 2 shown]
	v_cmp_eq_u32_e64 s[8:9], 0, v5
	s_branch .LBB54_2
.LBB54_1:                               ;   in Loop: Header=BB54_2 Depth=1
	s_or_b64 exec, exec, s[12:13]
	; wave barrier
	ds_read_u16 v4, v1
	s_add_i32 s14, s14, -1
	s_cmp_eq_u32 s14, 0
	s_cbranch_scc1 .LBB54_26
.LBB54_2:                               ; =>This Inner Loop Header: Depth=1
	s_waitcnt vmcnt(0) lgkmcnt(0)
	ds_write_b16 v0, v4
	; wave barrier
	s_and_saveexec_b64 s[12:13], vcc
	s_cbranch_execz .LBB54_4
; %bb.3:                                ;   in Loop: Header=BB54_2 Depth=1
	ds_read_u16 v4, v0
	ds_read_u16 v5, v0 offset:64
	s_waitcnt lgkmcnt(0)
	v_add_f16_e32 v4, v4, v5
.LBB54_4:                               ;   in Loop: Header=BB54_2 Depth=1
	s_or_b64 exec, exec, s[12:13]
	; wave barrier
	s_and_saveexec_b64 s[12:13], vcc
	s_cbranch_execz .LBB54_6
; %bb.5:                                ;   in Loop: Header=BB54_2 Depth=1
	ds_write_b16 v0, v4
.LBB54_6:                               ;   in Loop: Header=BB54_2 Depth=1
	s_or_b64 exec, exec, s[12:13]
	; wave barrier
	s_and_saveexec_b64 s[12:13], s[0:1]
	s_cbranch_execz .LBB54_8
; %bb.7:                                ;   in Loop: Header=BB54_2 Depth=1
	ds_read_u16 v4, v0
	ds_read_u16 v5, v0 offset:32
	s_waitcnt lgkmcnt(0)
	v_add_f16_e32 v4, v4, v5
.LBB54_8:                               ;   in Loop: Header=BB54_2 Depth=1
	s_or_b64 exec, exec, s[12:13]
	; wave barrier
	s_and_saveexec_b64 s[12:13], s[0:1]
	s_cbranch_execz .LBB54_10
; %bb.9:                                ;   in Loop: Header=BB54_2 Depth=1
	ds_write_b16 v0, v4
.LBB54_10:                              ;   in Loop: Header=BB54_2 Depth=1
	s_or_b64 exec, exec, s[12:13]
	; wave barrier
	s_and_saveexec_b64 s[12:13], s[2:3]
	s_cbranch_execz .LBB54_12
; %bb.11:                               ;   in Loop: Header=BB54_2 Depth=1
	ds_read_u16 v4, v0
	ds_read_u16 v5, v0 offset:16
	s_waitcnt lgkmcnt(0)
	v_add_f16_e32 v4, v4, v5
.LBB54_12:                              ;   in Loop: Header=BB54_2 Depth=1
	s_or_b64 exec, exec, s[12:13]
	; wave barrier
	s_and_saveexec_b64 s[12:13], s[2:3]
	s_cbranch_execz .LBB54_14
; %bb.13:                               ;   in Loop: Header=BB54_2 Depth=1
	ds_write_b16 v0, v4
.LBB54_14:                              ;   in Loop: Header=BB54_2 Depth=1
	s_or_b64 exec, exec, s[12:13]
	; wave barrier
	s_and_saveexec_b64 s[12:13], s[4:5]
	s_cbranch_execz .LBB54_16
; %bb.15:                               ;   in Loop: Header=BB54_2 Depth=1
	ds_read_u16 v4, v0
	ds_read_u16 v5, v0 offset:8
	s_waitcnt lgkmcnt(0)
	v_add_f16_e32 v4, v4, v5
.LBB54_16:                              ;   in Loop: Header=BB54_2 Depth=1
	s_or_b64 exec, exec, s[12:13]
	; wave barrier
	s_and_saveexec_b64 s[12:13], s[4:5]
	s_cbranch_execz .LBB54_18
; %bb.17:                               ;   in Loop: Header=BB54_2 Depth=1
	ds_write_b16 v0, v4
.LBB54_18:                              ;   in Loop: Header=BB54_2 Depth=1
	;; [unrolled: 17-line block ×3, first 2 shown]
	s_or_b64 exec, exec, s[12:13]
	; wave barrier
	s_and_saveexec_b64 s[12:13], s[8:9]
	s_cbranch_execz .LBB54_24
; %bb.23:                               ;   in Loop: Header=BB54_2 Depth=1
	ds_read_u16 v4, v0
	ds_read_u16 v5, v1 offset:2
	s_waitcnt lgkmcnt(0)
	v_add_f16_e32 v4, v4, v5
.LBB54_24:                              ;   in Loop: Header=BB54_2 Depth=1
	s_or_b64 exec, exec, s[12:13]
	; wave barrier
	s_and_saveexec_b64 s[12:13], s[8:9]
	s_cbranch_execz .LBB54_1
; %bb.25:                               ;   in Loop: Header=BB54_2 Depth=1
	ds_write_b16 v0, v4
	s_branch .LBB54_1
.LBB54_26:
	v_mov_b32_e32 v1, s11
	v_add_co_u32_e32 v0, vcc, s10, v2
	v_addc_co_u32_e32 v1, vcc, v1, v3, vcc
	s_waitcnt lgkmcnt(0)
	global_store_short v[0:1], v4, off
	s_endpgm
	.section	.rodata,"a",@progbits
	.p2align	6, 0x0
	.amdhsa_kernel _Z18warp_reduce_kernelILb1E6__halfLj61ELj100EEvPKT0_PS1_
		.amdhsa_group_segment_fixed_size 122
		.amdhsa_private_segment_fixed_size 0
		.amdhsa_kernarg_size 272
		.amdhsa_user_sgpr_count 6
		.amdhsa_user_sgpr_private_segment_buffer 1
		.amdhsa_user_sgpr_dispatch_ptr 0
		.amdhsa_user_sgpr_queue_ptr 0
		.amdhsa_user_sgpr_kernarg_segment_ptr 1
		.amdhsa_user_sgpr_dispatch_id 0
		.amdhsa_user_sgpr_flat_scratch_init 0
		.amdhsa_user_sgpr_kernarg_preload_length 0
		.amdhsa_user_sgpr_kernarg_preload_offset 0
		.amdhsa_user_sgpr_private_segment_size 0
		.amdhsa_uses_dynamic_stack 0
		.amdhsa_system_sgpr_private_segment_wavefront_offset 0
		.amdhsa_system_sgpr_workgroup_id_x 1
		.amdhsa_system_sgpr_workgroup_id_y 0
		.amdhsa_system_sgpr_workgroup_id_z 0
		.amdhsa_system_sgpr_workgroup_info 0
		.amdhsa_system_vgpr_workitem_id 0
		.amdhsa_next_free_vgpr 6
		.amdhsa_next_free_sgpr 15
		.amdhsa_accum_offset 8
		.amdhsa_reserve_vcc 1
		.amdhsa_reserve_flat_scratch 0
		.amdhsa_float_round_mode_32 0
		.amdhsa_float_round_mode_16_64 0
		.amdhsa_float_denorm_mode_32 3
		.amdhsa_float_denorm_mode_16_64 3
		.amdhsa_dx10_clamp 1
		.amdhsa_ieee_mode 1
		.amdhsa_fp16_overflow 0
		.amdhsa_tg_split 0
		.amdhsa_exception_fp_ieee_invalid_op 0
		.amdhsa_exception_fp_denorm_src 0
		.amdhsa_exception_fp_ieee_div_zero 0
		.amdhsa_exception_fp_ieee_overflow 0
		.amdhsa_exception_fp_ieee_underflow 0
		.amdhsa_exception_fp_ieee_inexact 0
		.amdhsa_exception_int_div_zero 0
	.end_amdhsa_kernel
	.section	.text._Z18warp_reduce_kernelILb1E6__halfLj61ELj100EEvPKT0_PS1_,"axG",@progbits,_Z18warp_reduce_kernelILb1E6__halfLj61ELj100EEvPKT0_PS1_,comdat
.Lfunc_end54:
	.size	_Z18warp_reduce_kernelILb1E6__halfLj61ELj100EEvPKT0_PS1_, .Lfunc_end54-_Z18warp_reduce_kernelILb1E6__halfLj61ELj100EEvPKT0_PS1_
                                        ; -- End function
	.section	.AMDGPU.csdata,"",@progbits
; Kernel info:
; codeLenInByte = 564
; NumSgprs: 19
; NumVgprs: 6
; NumAgprs: 0
; TotalNumVgprs: 6
; ScratchSize: 0
; MemoryBound: 0
; FloatMode: 240
; IeeeMode: 1
; LDSByteSize: 122 bytes/workgroup (compile time only)
; SGPRBlocks: 2
; VGPRBlocks: 0
; NumSGPRsForWavesPerEU: 19
; NumVGPRsForWavesPerEU: 6
; AccumOffset: 8
; Occupancy: 8
; WaveLimiterHint : 0
; COMPUTE_PGM_RSRC2:SCRATCH_EN: 0
; COMPUTE_PGM_RSRC2:USER_SGPR: 6
; COMPUTE_PGM_RSRC2:TRAP_HANDLER: 0
; COMPUTE_PGM_RSRC2:TGID_X_EN: 1
; COMPUTE_PGM_RSRC2:TGID_Y_EN: 0
; COMPUTE_PGM_RSRC2:TGID_Z_EN: 0
; COMPUTE_PGM_RSRC2:TIDIG_COMP_CNT: 0
; COMPUTE_PGM_RSRC3_GFX90A:ACCUM_OFFSET: 1
; COMPUTE_PGM_RSRC3_GFX90A:TG_SPLIT: 0
	.section	.text._Z18warp_reduce_kernelILb1E6__halfLj64ELj100EEvPKT0_PS1_,"axG",@progbits,_Z18warp_reduce_kernelILb1E6__halfLj64ELj100EEvPKT0_PS1_,comdat
	.protected	_Z18warp_reduce_kernelILb1E6__halfLj64ELj100EEvPKT0_PS1_ ; -- Begin function _Z18warp_reduce_kernelILb1E6__halfLj64ELj100EEvPKT0_PS1_
	.globl	_Z18warp_reduce_kernelILb1E6__halfLj64ELj100EEvPKT0_PS1_
	.p2align	8
	.type	_Z18warp_reduce_kernelILb1E6__halfLj64ELj100EEvPKT0_PS1_,@function
_Z18warp_reduce_kernelILb1E6__halfLj64ELj100EEvPKT0_PS1_: ; @_Z18warp_reduce_kernelILb1E6__halfLj64ELj100EEvPKT0_PS1_
; %bb.0:
	s_load_dword s7, s[4:5], 0x1c
	s_load_dwordx4 s[0:3], s[4:5], 0x0
	v_mov_b32_e32 v1, 0
	v_bfrev_b32_e32 v4, 0.5
	s_waitcnt lgkmcnt(0)
	s_and_b32 s4, s7, 0xffff
	s_mul_i32 s6, s6, s4
	v_add_u32_e32 v0, s6, v0
	v_lshlrev_b64 v[0:1], 1, v[0:1]
	v_mov_b32_e32 v3, s1
	v_add_co_u32_e32 v2, vcc, s0, v0
	v_addc_co_u32_e32 v3, vcc, v3, v1, vcc
	global_load_ushort v2, v[2:3], off
	v_mbcnt_lo_u32_b32 v3, -1, 0
	v_mbcnt_hi_u32_b32 v3, -1, v3
	v_lshl_or_b32 v3, v3, 2, v4
	s_movk_i32 s0, 0x64
.LBB55_1:                               ; =>This Inner Loop Header: Depth=1
	s_waitcnt vmcnt(0) lgkmcnt(0)
	v_and_b32_e32 v4, 0xffff, v2
	s_add_i32 s0, s0, -1
	s_cmp_eq_u32 s0, 0
	v_mov_b32_dpp v4, v4 quad_perm:[1,0,3,2] row_mask:0xf bank_mask:0xf
	v_add_f16_e32 v2, v2, v4
	s_nop 1
	v_mov_b32_dpp v4, v2 quad_perm:[2,3,0,1] row_mask:0xf bank_mask:0xf
	v_add_f16_e32 v2, v2, v4
	s_nop 1
	v_mov_b32_dpp v4, v2 row_ror:4 row_mask:0xf bank_mask:0xf
	v_add_f16_e32 v2, v2, v4
	s_nop 1
	v_mov_b32_dpp v4, v2 row_ror:8 row_mask:0xf bank_mask:0xf
	v_add_f16_e32 v2, v2, v4
	s_nop 1
	v_mov_b32_dpp v4, v2 row_bcast:15 row_mask:0xf bank_mask:0xf
	v_add_f16_e32 v2, v2, v4
	s_nop 1
	v_mov_b32_dpp v4, v2 row_bcast:31 row_mask:0xf bank_mask:0xf
	v_add_f16_e32 v2, v2, v4
	ds_bpermute_b32 v2, v3, v2
	s_cbranch_scc0 .LBB55_1
; %bb.2:
	v_mov_b32_e32 v3, s3
	v_add_co_u32_e32 v0, vcc, s2, v0
	v_addc_co_u32_e32 v1, vcc, v3, v1, vcc
	s_waitcnt lgkmcnt(0)
	global_store_short v[0:1], v2, off
	s_endpgm
	.section	.rodata,"a",@progbits
	.p2align	6, 0x0
	.amdhsa_kernel _Z18warp_reduce_kernelILb1E6__halfLj64ELj100EEvPKT0_PS1_
		.amdhsa_group_segment_fixed_size 0
		.amdhsa_private_segment_fixed_size 0
		.amdhsa_kernarg_size 272
		.amdhsa_user_sgpr_count 6
		.amdhsa_user_sgpr_private_segment_buffer 1
		.amdhsa_user_sgpr_dispatch_ptr 0
		.amdhsa_user_sgpr_queue_ptr 0
		.amdhsa_user_sgpr_kernarg_segment_ptr 1
		.amdhsa_user_sgpr_dispatch_id 0
		.amdhsa_user_sgpr_flat_scratch_init 0
		.amdhsa_user_sgpr_kernarg_preload_length 0
		.amdhsa_user_sgpr_kernarg_preload_offset 0
		.amdhsa_user_sgpr_private_segment_size 0
		.amdhsa_uses_dynamic_stack 0
		.amdhsa_system_sgpr_private_segment_wavefront_offset 0
		.amdhsa_system_sgpr_workgroup_id_x 1
		.amdhsa_system_sgpr_workgroup_id_y 0
		.amdhsa_system_sgpr_workgroup_id_z 0
		.amdhsa_system_sgpr_workgroup_info 0
		.amdhsa_system_vgpr_workitem_id 0
		.amdhsa_next_free_vgpr 5
		.amdhsa_next_free_sgpr 8
		.amdhsa_accum_offset 8
		.amdhsa_reserve_vcc 1
		.amdhsa_reserve_flat_scratch 0
		.amdhsa_float_round_mode_32 0
		.amdhsa_float_round_mode_16_64 0
		.amdhsa_float_denorm_mode_32 3
		.amdhsa_float_denorm_mode_16_64 3
		.amdhsa_dx10_clamp 1
		.amdhsa_ieee_mode 1
		.amdhsa_fp16_overflow 0
		.amdhsa_tg_split 0
		.amdhsa_exception_fp_ieee_invalid_op 0
		.amdhsa_exception_fp_denorm_src 0
		.amdhsa_exception_fp_ieee_div_zero 0
		.amdhsa_exception_fp_ieee_overflow 0
		.amdhsa_exception_fp_ieee_underflow 0
		.amdhsa_exception_fp_ieee_inexact 0
		.amdhsa_exception_int_div_zero 0
	.end_amdhsa_kernel
	.section	.text._Z18warp_reduce_kernelILb1E6__halfLj64ELj100EEvPKT0_PS1_,"axG",@progbits,_Z18warp_reduce_kernelILb1E6__halfLj64ELj100EEvPKT0_PS1_,comdat
.Lfunc_end55:
	.size	_Z18warp_reduce_kernelILb1E6__halfLj64ELj100EEvPKT0_PS1_, .Lfunc_end55-_Z18warp_reduce_kernelILb1E6__halfLj64ELj100EEvPKT0_PS1_
                                        ; -- End function
	.section	.AMDGPU.csdata,"",@progbits
; Kernel info:
; codeLenInByte = 252
; NumSgprs: 12
; NumVgprs: 5
; NumAgprs: 0
; TotalNumVgprs: 5
; ScratchSize: 0
; MemoryBound: 0
; FloatMode: 240
; IeeeMode: 1
; LDSByteSize: 0 bytes/workgroup (compile time only)
; SGPRBlocks: 1
; VGPRBlocks: 0
; NumSGPRsForWavesPerEU: 12
; NumVGPRsForWavesPerEU: 5
; AccumOffset: 8
; Occupancy: 8
; WaveLimiterHint : 0
; COMPUTE_PGM_RSRC2:SCRATCH_EN: 0
; COMPUTE_PGM_RSRC2:USER_SGPR: 6
; COMPUTE_PGM_RSRC2:TRAP_HANDLER: 0
; COMPUTE_PGM_RSRC2:TGID_X_EN: 1
; COMPUTE_PGM_RSRC2:TGID_Y_EN: 0
; COMPUTE_PGM_RSRC2:TGID_Z_EN: 0
; COMPUTE_PGM_RSRC2:TIDIG_COMP_CNT: 0
; COMPUTE_PGM_RSRC3_GFX90A:ACCUM_OFFSET: 1
; COMPUTE_PGM_RSRC3_GFX90A:TG_SPLIT: 0
	.section	.text._Z18warp_reduce_kernelILb1EnLj32ELj100EEvPKT0_PS0_,"axG",@progbits,_Z18warp_reduce_kernelILb1EnLj32ELj100EEvPKT0_PS0_,comdat
	.protected	_Z18warp_reduce_kernelILb1EnLj32ELj100EEvPKT0_PS0_ ; -- Begin function _Z18warp_reduce_kernelILb1EnLj32ELj100EEvPKT0_PS0_
	.globl	_Z18warp_reduce_kernelILb1EnLj32ELj100EEvPKT0_PS0_
	.p2align	8
	.type	_Z18warp_reduce_kernelILb1EnLj32ELj100EEvPKT0_PS0_,@function
_Z18warp_reduce_kernelILb1EnLj32ELj100EEvPKT0_PS0_: ; @_Z18warp_reduce_kernelILb1EnLj32ELj100EEvPKT0_PS0_
; %bb.0:
	s_load_dword s7, s[4:5], 0x1c
	s_load_dwordx4 s[0:3], s[4:5], 0x0
	v_mov_b32_e32 v1, 0
	v_mbcnt_lo_u32_b32 v6, -1, 0
	v_mbcnt_hi_u32_b32 v11, -1, v6
	s_waitcnt lgkmcnt(0)
	s_and_b32 s4, s7, 0xffff
	s_mul_i32 s6, s6, s4
	v_add_u32_e32 v0, s6, v0
	v_lshlrev_b64 v[4:5], 4, v[0:1]
	v_mov_b32_e32 v1, s1
	v_add_co_u32_e32 v0, vcc, s0, v4
	v_addc_co_u32_e32 v1, vcc, v1, v5, vcc
	global_load_dwordx4 v[0:3], v[0:1], off
	v_and_b32_e32 v10, 31, v11
	v_cmp_ne_u32_e32 vcc, 31, v10
	v_addc_co_u32_e32 v6, vcc, 0, v11, vcc
	v_cmp_gt_u32_e32 vcc, 30, v10
	v_cndmask_b32_e64 v7, 0, 1, vcc
	v_cmp_gt_u32_e32 vcc, 28, v10
	v_cndmask_b32_e64 v8, 0, 1, vcc
	v_cmp_gt_u32_e32 vcc, 24, v10
	v_cndmask_b32_e64 v9, 0, 1, vcc
	v_cmp_gt_u32_e32 vcc, 16, v10
	v_cndmask_b32_e64 v10, 0, 1, vcc
	v_lshlrev_b32_e32 v7, 1, v7
	v_lshlrev_b32_e32 v8, 2, v8
	;; [unrolled: 1-line block ×4, first 2 shown]
	v_add_lshl_u32 v7, v7, v11, 2
	v_add_lshl_u32 v8, v8, v11, 2
	;; [unrolled: 1-line block ×4, first 2 shown]
	v_lshlrev_b32_e32 v11, 2, v11
	v_lshlrev_b32_e32 v6, 2, v6
	v_and_b32_e32 v11, 0x180, v11
	s_movk_i32 s0, 0x64
.LBB56_1:                               ; =>This Inner Loop Header: Depth=1
	s_waitcnt vmcnt(0) lgkmcnt(3)
	ds_bpermute_b32 v12, v6, v0
	s_waitcnt lgkmcnt(3)
	ds_bpermute_b32 v13, v6, v1
	s_waitcnt lgkmcnt(3)
	;; [unrolled: 2-line block ×3, first 2 shown]
	ds_bpermute_b32 v15, v6, v3
	s_add_i32 s0, s0, -1
	s_waitcnt lgkmcnt(3)
	v_add_co_u32_e32 v0, vcc, v0, v12
	v_addc_co_u32_e32 v1, vcc, 0, v1, vcc
	v_addc_co_u32_e32 v2, vcc, 0, v2, vcc
	;; [unrolled: 1-line block ×3, first 2 shown]
	v_add_co_u32_e32 v12, vcc, 0, v0
	s_waitcnt lgkmcnt(2)
	v_addc_co_u32_e32 v1, vcc, v13, v1, vcc
	v_addc_co_u32_e32 v2, vcc, 0, v2, vcc
	v_addc_co_u32_e32 v3, vcc, 0, v3, vcc
	ds_bpermute_b32 v0, v7, v0
	s_waitcnt lgkmcnt(2)
	v_add_co_u32_e32 v2, vcc, v2, v14
	v_addc_co_u32_e32 v3, vcc, 0, v3, vcc
	v_add_co_u32_e32 v13, vcc, 0, v2
	s_waitcnt lgkmcnt(1)
	v_addc_co_u32_e32 v3, vcc, v3, v15, vcc
	ds_bpermute_b32 v14, v7, v1
	s_waitcnt lgkmcnt(1)
	v_add_co_u32_e32 v0, vcc, v12, v0
	v_addc_co_u32_e32 v1, vcc, 0, v1, vcc
	v_addc_co_u32_e32 v12, vcc, 0, v13, vcc
	ds_bpermute_b32 v2, v7, v2
	ds_bpermute_b32 v15, v7, v3
	v_addc_co_u32_e32 v3, vcc, 0, v3, vcc
	v_add_co_u32_e32 v13, vcc, 0, v0
	s_waitcnt lgkmcnt(2)
	v_addc_co_u32_e32 v1, vcc, v1, v14, vcc
	v_addc_co_u32_e32 v12, vcc, 0, v12, vcc
	v_addc_co_u32_e32 v3, vcc, 0, v3, vcc
	ds_bpermute_b32 v0, v8, v0
	s_waitcnt lgkmcnt(2)
	v_add_co_u32_e32 v2, vcc, v12, v2
	v_addc_co_u32_e32 v3, vcc, 0, v3, vcc
	v_add_co_u32_e32 v12, vcc, 0, v2
	s_waitcnt lgkmcnt(1)
	v_addc_co_u32_e32 v3, vcc, v3, v15, vcc
	ds_bpermute_b32 v14, v8, v1
	s_waitcnt lgkmcnt(1)
	v_add_co_u32_e32 v0, vcc, v13, v0
	v_addc_co_u32_e32 v1, vcc, 0, v1, vcc
	v_addc_co_u32_e32 v12, vcc, 0, v12, vcc
	ds_bpermute_b32 v2, v8, v2
	ds_bpermute_b32 v15, v8, v3
	v_addc_co_u32_e32 v3, vcc, 0, v3, vcc
	;; [unrolled: 20-line block ×4, first 2 shown]
	v_add_co_u32_e32 v13, vcc, 0, v0
	s_waitcnt lgkmcnt(2)
	v_addc_co_u32_e32 v1, vcc, v1, v14, vcc
	v_addc_co_u32_e32 v12, vcc, 0, v12, vcc
	;; [unrolled: 1-line block ×3, first 2 shown]
	s_waitcnt lgkmcnt(1)
	v_add_co_u32_e32 v2, vcc, v12, v2
	v_addc_co_u32_e32 v3, vcc, 0, v3, vcc
	s_waitcnt lgkmcnt(0)
	v_add_u32_e32 v3, v15, v3
	ds_bpermute_b32 v0, v11, v0
	ds_bpermute_b32 v1, v11, v1
	;; [unrolled: 1-line block ×4, first 2 shown]
	s_cmp_eq_u32 s0, 0
	s_cbranch_scc0 .LBB56_1
; %bb.2:
	v_mov_b32_e32 v6, s3
	v_add_co_u32_e32 v4, vcc, s2, v4
	v_addc_co_u32_e32 v5, vcc, v6, v5, vcc
	s_waitcnt lgkmcnt(0)
	global_store_dwordx4 v[4:5], v[0:3], off
	s_endpgm
	.section	.rodata,"a",@progbits
	.p2align	6, 0x0
	.amdhsa_kernel _Z18warp_reduce_kernelILb1EnLj32ELj100EEvPKT0_PS0_
		.amdhsa_group_segment_fixed_size 0
		.amdhsa_private_segment_fixed_size 0
		.amdhsa_kernarg_size 272
		.amdhsa_user_sgpr_count 6
		.amdhsa_user_sgpr_private_segment_buffer 1
		.amdhsa_user_sgpr_dispatch_ptr 0
		.amdhsa_user_sgpr_queue_ptr 0
		.amdhsa_user_sgpr_kernarg_segment_ptr 1
		.amdhsa_user_sgpr_dispatch_id 0
		.amdhsa_user_sgpr_flat_scratch_init 0
		.amdhsa_user_sgpr_kernarg_preload_length 0
		.amdhsa_user_sgpr_kernarg_preload_offset 0
		.amdhsa_user_sgpr_private_segment_size 0
		.amdhsa_uses_dynamic_stack 0
		.amdhsa_system_sgpr_private_segment_wavefront_offset 0
		.amdhsa_system_sgpr_workgroup_id_x 1
		.amdhsa_system_sgpr_workgroup_id_y 0
		.amdhsa_system_sgpr_workgroup_id_z 0
		.amdhsa_system_sgpr_workgroup_info 0
		.amdhsa_system_vgpr_workitem_id 0
		.amdhsa_next_free_vgpr 16
		.amdhsa_next_free_sgpr 8
		.amdhsa_accum_offset 16
		.amdhsa_reserve_vcc 1
		.amdhsa_reserve_flat_scratch 0
		.amdhsa_float_round_mode_32 0
		.amdhsa_float_round_mode_16_64 0
		.amdhsa_float_denorm_mode_32 3
		.amdhsa_float_denorm_mode_16_64 3
		.amdhsa_dx10_clamp 1
		.amdhsa_ieee_mode 1
		.amdhsa_fp16_overflow 0
		.amdhsa_tg_split 0
		.amdhsa_exception_fp_ieee_invalid_op 0
		.amdhsa_exception_fp_denorm_src 0
		.amdhsa_exception_fp_ieee_div_zero 0
		.amdhsa_exception_fp_ieee_overflow 0
		.amdhsa_exception_fp_ieee_underflow 0
		.amdhsa_exception_fp_ieee_inexact 0
		.amdhsa_exception_int_div_zero 0
	.end_amdhsa_kernel
	.section	.text._Z18warp_reduce_kernelILb1EnLj32ELj100EEvPKT0_PS0_,"axG",@progbits,_Z18warp_reduce_kernelILb1EnLj32ELj100EEvPKT0_PS0_,comdat
.Lfunc_end56:
	.size	_Z18warp_reduce_kernelILb1EnLj32ELj100EEvPKT0_PS0_, .Lfunc_end56-_Z18warp_reduce_kernelILb1EnLj32ELj100EEvPKT0_PS0_
                                        ; -- End function
	.section	.AMDGPU.csdata,"",@progbits
; Kernel info:
; codeLenInByte = 776
; NumSgprs: 12
; NumVgprs: 16
; NumAgprs: 0
; TotalNumVgprs: 16
; ScratchSize: 0
; MemoryBound: 0
; FloatMode: 240
; IeeeMode: 1
; LDSByteSize: 0 bytes/workgroup (compile time only)
; SGPRBlocks: 1
; VGPRBlocks: 1
; NumSGPRsForWavesPerEU: 12
; NumVGPRsForWavesPerEU: 16
; AccumOffset: 16
; Occupancy: 8
; WaveLimiterHint : 0
; COMPUTE_PGM_RSRC2:SCRATCH_EN: 0
; COMPUTE_PGM_RSRC2:USER_SGPR: 6
; COMPUTE_PGM_RSRC2:TRAP_HANDLER: 0
; COMPUTE_PGM_RSRC2:TGID_X_EN: 1
; COMPUTE_PGM_RSRC2:TGID_Y_EN: 0
; COMPUTE_PGM_RSRC2:TGID_Z_EN: 0
; COMPUTE_PGM_RSRC2:TIDIG_COMP_CNT: 0
; COMPUTE_PGM_RSRC3_GFX90A:ACCUM_OFFSET: 3
; COMPUTE_PGM_RSRC3_GFX90A:TG_SPLIT: 0
	.section	.text._Z18warp_reduce_kernelILb1EnLj37ELj100EEvPKT0_PS0_,"axG",@progbits,_Z18warp_reduce_kernelILb1EnLj37ELj100EEvPKT0_PS0_,comdat
	.protected	_Z18warp_reduce_kernelILb1EnLj37ELj100EEvPKT0_PS0_ ; -- Begin function _Z18warp_reduce_kernelILb1EnLj37ELj100EEvPKT0_PS0_
	.globl	_Z18warp_reduce_kernelILb1EnLj37ELj100EEvPKT0_PS0_
	.p2align	8
	.type	_Z18warp_reduce_kernelILb1EnLj37ELj100EEvPKT0_PS0_,@function
_Z18warp_reduce_kernelILb1EnLj37ELj100EEvPKT0_PS0_: ; @_Z18warp_reduce_kernelILb1EnLj37ELj100EEvPKT0_PS0_
; %bb.0:
	s_load_dword s0, s[4:5], 0x1c
	s_load_dwordx4 s[12:15], s[4:5], 0x0
	v_mov_b32_e32 v5, 0
	s_movk_i32 s16, 0x64
	s_waitcnt lgkmcnt(0)
	s_and_b32 s0, s0, 0xffff
	s_mul_i32 s6, s6, s0
	v_add_u32_e32 v4, s6, v0
	v_lshlrev_b64 v[6:7], 4, v[4:5]
	v_mov_b32_e32 v1, s13
	v_add_co_u32_e32 v0, vcc, s12, v6
	v_addc_co_u32_e32 v1, vcc, v1, v7, vcc
	global_load_dwordx4 v[0:3], v[0:1], off
	v_mbcnt_lo_u32_b32 v4, -1, 0
	v_mbcnt_hi_u32_b32 v4, -1, v4
	s_mov_b32 s0, 0x6eb3e46
	v_mul_hi_u32 v8, v4, s0
	v_mul_u32_u24_e32 v8, 37, v8
	v_sub_u32_e32 v8, v4, v8
	v_lshlrev_b32_e32 v4, 4, v8
	v_cmp_gt_u32_e64 s[0:1], 5, v8
	v_cmp_gt_u32_e64 s[2:3], 16, v8
	;; [unrolled: 1-line block ×5, first 2 shown]
	v_cmp_eq_u32_e64 s[10:11], 0, v8
	s_branch .LBB57_2
.LBB57_1:                               ;   in Loop: Header=BB57_2 Depth=1
	s_or_b64 exec, exec, s[12:13]
	; wave barrier
	ds_read_b128 v[0:3], v5
	s_add_i32 s16, s16, -1
	s_cmp_eq_u32 s16, 0
	s_cbranch_scc1 .LBB57_26
.LBB57_2:                               ; =>This Inner Loop Header: Depth=1
	s_waitcnt vmcnt(0) lgkmcnt(0)
	ds_write_b128 v4, v[0:3]
	; wave barrier
	s_and_saveexec_b64 s[12:13], s[0:1]
	s_cbranch_execz .LBB57_4
; %bb.3:                                ;   in Loop: Header=BB57_2 Depth=1
	ds_read_b128 v[0:3], v4
	ds_read_b128 v[8:11], v4 offset:512
	s_waitcnt lgkmcnt(0)
	v_add_co_u32_e32 v0, vcc, v8, v0
	v_addc_co_u32_e32 v1, vcc, v9, v1, vcc
	v_addc_co_u32_e32 v2, vcc, v10, v2, vcc
	;; [unrolled: 1-line block ×3, first 2 shown]
.LBB57_4:                               ;   in Loop: Header=BB57_2 Depth=1
	s_or_b64 exec, exec, s[12:13]
	; wave barrier
	s_and_saveexec_b64 s[12:13], s[0:1]
	s_cbranch_execz .LBB57_6
; %bb.5:                                ;   in Loop: Header=BB57_2 Depth=1
	ds_write_b128 v4, v[0:3]
.LBB57_6:                               ;   in Loop: Header=BB57_2 Depth=1
	s_or_b64 exec, exec, s[12:13]
	; wave barrier
	s_and_saveexec_b64 s[12:13], s[2:3]
	s_cbranch_execz .LBB57_8
; %bb.7:                                ;   in Loop: Header=BB57_2 Depth=1
	ds_read_b128 v[0:3], v4
	ds_read_b128 v[8:11], v4 offset:256
	s_waitcnt lgkmcnt(0)
	v_add_co_u32_e32 v0, vcc, v8, v0
	v_addc_co_u32_e32 v1, vcc, v9, v1, vcc
	v_addc_co_u32_e32 v2, vcc, v10, v2, vcc
	;; [unrolled: 1-line block ×3, first 2 shown]
.LBB57_8:                               ;   in Loop: Header=BB57_2 Depth=1
	s_or_b64 exec, exec, s[12:13]
	; wave barrier
	s_and_saveexec_b64 s[12:13], s[2:3]
	s_cbranch_execz .LBB57_10
; %bb.9:                                ;   in Loop: Header=BB57_2 Depth=1
	ds_write_b128 v4, v[0:3]
.LBB57_10:                              ;   in Loop: Header=BB57_2 Depth=1
	s_or_b64 exec, exec, s[12:13]
	; wave barrier
	s_and_saveexec_b64 s[12:13], s[4:5]
	s_cbranch_execz .LBB57_12
; %bb.11:                               ;   in Loop: Header=BB57_2 Depth=1
	ds_read_b128 v[0:3], v4
	ds_read_b128 v[8:11], v4 offset:128
	s_waitcnt lgkmcnt(0)
	v_add_co_u32_e32 v0, vcc, v8, v0
	v_addc_co_u32_e32 v1, vcc, v9, v1, vcc
	v_addc_co_u32_e32 v2, vcc, v10, v2, vcc
	v_addc_co_u32_e32 v3, vcc, v11, v3, vcc
.LBB57_12:                              ;   in Loop: Header=BB57_2 Depth=1
	s_or_b64 exec, exec, s[12:13]
	; wave barrier
	s_and_saveexec_b64 s[12:13], s[4:5]
	s_cbranch_execz .LBB57_14
; %bb.13:                               ;   in Loop: Header=BB57_2 Depth=1
	ds_write_b128 v4, v[0:3]
.LBB57_14:                              ;   in Loop: Header=BB57_2 Depth=1
	s_or_b64 exec, exec, s[12:13]
	; wave barrier
	s_and_saveexec_b64 s[12:13], s[6:7]
	s_cbranch_execz .LBB57_16
; %bb.15:                               ;   in Loop: Header=BB57_2 Depth=1
	ds_read_b128 v[0:3], v4
	ds_read_b128 v[8:11], v4 offset:64
	s_waitcnt lgkmcnt(0)
	v_add_co_u32_e32 v0, vcc, v8, v0
	v_addc_co_u32_e32 v1, vcc, v9, v1, vcc
	v_addc_co_u32_e32 v2, vcc, v10, v2, vcc
	v_addc_co_u32_e32 v3, vcc, v11, v3, vcc
.LBB57_16:                              ;   in Loop: Header=BB57_2 Depth=1
	s_or_b64 exec, exec, s[12:13]
	; wave barrier
	s_and_saveexec_b64 s[12:13], s[6:7]
	s_cbranch_execz .LBB57_18
; %bb.17:                               ;   in Loop: Header=BB57_2 Depth=1
	ds_write_b128 v4, v[0:3]
.LBB57_18:                              ;   in Loop: Header=BB57_2 Depth=1
	;; [unrolled: 20-line block ×3, first 2 shown]
	s_or_b64 exec, exec, s[12:13]
	; wave barrier
	s_and_saveexec_b64 s[12:13], s[10:11]
	s_cbranch_execz .LBB57_24
; %bb.23:                               ;   in Loop: Header=BB57_2 Depth=1
	ds_read_b128 v[0:3], v4
	ds_read_b128 v[8:11], v5 offset:16
	s_waitcnt lgkmcnt(0)
	v_add_co_u32_e32 v0, vcc, v8, v0
	v_addc_co_u32_e32 v1, vcc, v9, v1, vcc
	v_addc_co_u32_e32 v2, vcc, v10, v2, vcc
	;; [unrolled: 1-line block ×3, first 2 shown]
.LBB57_24:                              ;   in Loop: Header=BB57_2 Depth=1
	s_or_b64 exec, exec, s[12:13]
	; wave barrier
	s_and_saveexec_b64 s[12:13], s[10:11]
	s_cbranch_execz .LBB57_1
; %bb.25:                               ;   in Loop: Header=BB57_2 Depth=1
	ds_write_b128 v4, v[0:3]
	s_branch .LBB57_1
.LBB57_26:
	v_mov_b32_e32 v5, s15
	v_add_co_u32_e32 v4, vcc, s14, v6
	v_addc_co_u32_e32 v5, vcc, v5, v7, vcc
	s_waitcnt lgkmcnt(0)
	global_store_dwordx4 v[4:5], v[0:3], off
	s_endpgm
	.section	.rodata,"a",@progbits
	.p2align	6, 0x0
	.amdhsa_kernel _Z18warp_reduce_kernelILb1EnLj37ELj100EEvPKT0_PS0_
		.amdhsa_group_segment_fixed_size 592
		.amdhsa_private_segment_fixed_size 0
		.amdhsa_kernarg_size 272
		.amdhsa_user_sgpr_count 6
		.amdhsa_user_sgpr_private_segment_buffer 1
		.amdhsa_user_sgpr_dispatch_ptr 0
		.amdhsa_user_sgpr_queue_ptr 0
		.amdhsa_user_sgpr_kernarg_segment_ptr 1
		.amdhsa_user_sgpr_dispatch_id 0
		.amdhsa_user_sgpr_flat_scratch_init 0
		.amdhsa_user_sgpr_kernarg_preload_length 0
		.amdhsa_user_sgpr_kernarg_preload_offset 0
		.amdhsa_user_sgpr_private_segment_size 0
		.amdhsa_uses_dynamic_stack 0
		.amdhsa_system_sgpr_private_segment_wavefront_offset 0
		.amdhsa_system_sgpr_workgroup_id_x 1
		.amdhsa_system_sgpr_workgroup_id_y 0
		.amdhsa_system_sgpr_workgroup_id_z 0
		.amdhsa_system_sgpr_workgroup_info 0
		.amdhsa_system_vgpr_workitem_id 0
		.amdhsa_next_free_vgpr 12
		.amdhsa_next_free_sgpr 17
		.amdhsa_accum_offset 12
		.amdhsa_reserve_vcc 1
		.amdhsa_reserve_flat_scratch 0
		.amdhsa_float_round_mode_32 0
		.amdhsa_float_round_mode_16_64 0
		.amdhsa_float_denorm_mode_32 3
		.amdhsa_float_denorm_mode_16_64 3
		.amdhsa_dx10_clamp 1
		.amdhsa_ieee_mode 1
		.amdhsa_fp16_overflow 0
		.amdhsa_tg_split 0
		.amdhsa_exception_fp_ieee_invalid_op 0
		.amdhsa_exception_fp_denorm_src 0
		.amdhsa_exception_fp_ieee_div_zero 0
		.amdhsa_exception_fp_ieee_overflow 0
		.amdhsa_exception_fp_ieee_underflow 0
		.amdhsa_exception_fp_ieee_inexact 0
		.amdhsa_exception_int_div_zero 0
	.end_amdhsa_kernel
	.section	.text._Z18warp_reduce_kernelILb1EnLj37ELj100EEvPKT0_PS0_,"axG",@progbits,_Z18warp_reduce_kernelILb1EnLj37ELj100EEvPKT0_PS0_,comdat
.Lfunc_end57:
	.size	_Z18warp_reduce_kernelILb1EnLj37ELj100EEvPKT0_PS0_, .Lfunc_end57-_Z18warp_reduce_kernelILb1EnLj37ELj100EEvPKT0_PS0_
                                        ; -- End function
	.section	.AMDGPU.csdata,"",@progbits
; Kernel info:
; codeLenInByte = 640
; NumSgprs: 21
; NumVgprs: 12
; NumAgprs: 0
; TotalNumVgprs: 12
; ScratchSize: 0
; MemoryBound: 0
; FloatMode: 240
; IeeeMode: 1
; LDSByteSize: 592 bytes/workgroup (compile time only)
; SGPRBlocks: 2
; VGPRBlocks: 1
; NumSGPRsForWavesPerEU: 21
; NumVGPRsForWavesPerEU: 12
; AccumOffset: 12
; Occupancy: 8
; WaveLimiterHint : 0
; COMPUTE_PGM_RSRC2:SCRATCH_EN: 0
; COMPUTE_PGM_RSRC2:USER_SGPR: 6
; COMPUTE_PGM_RSRC2:TRAP_HANDLER: 0
; COMPUTE_PGM_RSRC2:TGID_X_EN: 1
; COMPUTE_PGM_RSRC2:TGID_Y_EN: 0
; COMPUTE_PGM_RSRC2:TGID_Z_EN: 0
; COMPUTE_PGM_RSRC2:TIDIG_COMP_CNT: 0
; COMPUTE_PGM_RSRC3_GFX90A:ACCUM_OFFSET: 2
; COMPUTE_PGM_RSRC3_GFX90A:TG_SPLIT: 0
	.section	.text._Z18warp_reduce_kernelILb1EnLj61ELj100EEvPKT0_PS0_,"axG",@progbits,_Z18warp_reduce_kernelILb1EnLj61ELj100EEvPKT0_PS0_,comdat
	.protected	_Z18warp_reduce_kernelILb1EnLj61ELj100EEvPKT0_PS0_ ; -- Begin function _Z18warp_reduce_kernelILb1EnLj61ELj100EEvPKT0_PS0_
	.globl	_Z18warp_reduce_kernelILb1EnLj61ELj100EEvPKT0_PS0_
	.p2align	8
	.type	_Z18warp_reduce_kernelILb1EnLj61ELj100EEvPKT0_PS0_,@function
_Z18warp_reduce_kernelILb1EnLj61ELj100EEvPKT0_PS0_: ; @_Z18warp_reduce_kernelILb1EnLj61ELj100EEvPKT0_PS0_
; %bb.0:
	s_load_dword s0, s[4:5], 0x1c
	s_load_dwordx4 s[12:15], s[4:5], 0x0
	v_mov_b32_e32 v5, 0
	s_movk_i32 s16, 0x64
	s_waitcnt lgkmcnt(0)
	s_and_b32 s0, s0, 0xffff
	s_mul_i32 s6, s6, s0
	v_add_u32_e32 v4, s6, v0
	v_lshlrev_b64 v[6:7], 4, v[4:5]
	v_mov_b32_e32 v1, s13
	v_add_co_u32_e32 v0, vcc, s12, v6
	v_addc_co_u32_e32 v1, vcc, v1, v7, vcc
	global_load_dwordx4 v[0:3], v[0:1], off
	v_mbcnt_lo_u32_b32 v4, -1, 0
	v_mbcnt_hi_u32_b32 v4, -1, v4
	s_mov_b32 s0, 0x4325c54
	v_mul_hi_u32 v8, v4, s0
	v_mul_u32_u24_e32 v8, 61, v8
	v_sub_u32_e32 v8, v4, v8
	v_lshlrev_b32_e32 v4, 4, v8
	v_cmp_gt_u32_e64 s[0:1], 29, v8
	v_cmp_gt_u32_e64 s[2:3], 16, v8
	;; [unrolled: 1-line block ×5, first 2 shown]
	v_cmp_eq_u32_e64 s[10:11], 0, v8
	s_branch .LBB58_2
.LBB58_1:                               ;   in Loop: Header=BB58_2 Depth=1
	s_or_b64 exec, exec, s[12:13]
	; wave barrier
	ds_read_b128 v[0:3], v5
	s_add_i32 s16, s16, -1
	s_cmp_eq_u32 s16, 0
	s_cbranch_scc1 .LBB58_26
.LBB58_2:                               ; =>This Inner Loop Header: Depth=1
	s_waitcnt vmcnt(0) lgkmcnt(0)
	ds_write_b128 v4, v[0:3]
	; wave barrier
	s_and_saveexec_b64 s[12:13], s[0:1]
	s_cbranch_execz .LBB58_4
; %bb.3:                                ;   in Loop: Header=BB58_2 Depth=1
	ds_read_b128 v[0:3], v4
	ds_read_b128 v[8:11], v4 offset:512
	s_waitcnt lgkmcnt(0)
	v_add_co_u32_e32 v0, vcc, v8, v0
	v_addc_co_u32_e32 v1, vcc, v9, v1, vcc
	v_addc_co_u32_e32 v2, vcc, v10, v2, vcc
	;; [unrolled: 1-line block ×3, first 2 shown]
.LBB58_4:                               ;   in Loop: Header=BB58_2 Depth=1
	s_or_b64 exec, exec, s[12:13]
	; wave barrier
	s_and_saveexec_b64 s[12:13], s[0:1]
	s_cbranch_execz .LBB58_6
; %bb.5:                                ;   in Loop: Header=BB58_2 Depth=1
	ds_write_b128 v4, v[0:3]
.LBB58_6:                               ;   in Loop: Header=BB58_2 Depth=1
	s_or_b64 exec, exec, s[12:13]
	; wave barrier
	s_and_saveexec_b64 s[12:13], s[2:3]
	s_cbranch_execz .LBB58_8
; %bb.7:                                ;   in Loop: Header=BB58_2 Depth=1
	ds_read_b128 v[0:3], v4
	ds_read_b128 v[8:11], v4 offset:256
	s_waitcnt lgkmcnt(0)
	v_add_co_u32_e32 v0, vcc, v8, v0
	v_addc_co_u32_e32 v1, vcc, v9, v1, vcc
	v_addc_co_u32_e32 v2, vcc, v10, v2, vcc
	;; [unrolled: 1-line block ×3, first 2 shown]
.LBB58_8:                               ;   in Loop: Header=BB58_2 Depth=1
	s_or_b64 exec, exec, s[12:13]
	; wave barrier
	s_and_saveexec_b64 s[12:13], s[2:3]
	s_cbranch_execz .LBB58_10
; %bb.9:                                ;   in Loop: Header=BB58_2 Depth=1
	ds_write_b128 v4, v[0:3]
.LBB58_10:                              ;   in Loop: Header=BB58_2 Depth=1
	s_or_b64 exec, exec, s[12:13]
	; wave barrier
	s_and_saveexec_b64 s[12:13], s[4:5]
	s_cbranch_execz .LBB58_12
; %bb.11:                               ;   in Loop: Header=BB58_2 Depth=1
	ds_read_b128 v[0:3], v4
	ds_read_b128 v[8:11], v4 offset:128
	s_waitcnt lgkmcnt(0)
	v_add_co_u32_e32 v0, vcc, v8, v0
	v_addc_co_u32_e32 v1, vcc, v9, v1, vcc
	v_addc_co_u32_e32 v2, vcc, v10, v2, vcc
	v_addc_co_u32_e32 v3, vcc, v11, v3, vcc
.LBB58_12:                              ;   in Loop: Header=BB58_2 Depth=1
	s_or_b64 exec, exec, s[12:13]
	; wave barrier
	s_and_saveexec_b64 s[12:13], s[4:5]
	s_cbranch_execz .LBB58_14
; %bb.13:                               ;   in Loop: Header=BB58_2 Depth=1
	ds_write_b128 v4, v[0:3]
.LBB58_14:                              ;   in Loop: Header=BB58_2 Depth=1
	s_or_b64 exec, exec, s[12:13]
	; wave barrier
	s_and_saveexec_b64 s[12:13], s[6:7]
	s_cbranch_execz .LBB58_16
; %bb.15:                               ;   in Loop: Header=BB58_2 Depth=1
	ds_read_b128 v[0:3], v4
	ds_read_b128 v[8:11], v4 offset:64
	s_waitcnt lgkmcnt(0)
	v_add_co_u32_e32 v0, vcc, v8, v0
	v_addc_co_u32_e32 v1, vcc, v9, v1, vcc
	v_addc_co_u32_e32 v2, vcc, v10, v2, vcc
	v_addc_co_u32_e32 v3, vcc, v11, v3, vcc
.LBB58_16:                              ;   in Loop: Header=BB58_2 Depth=1
	s_or_b64 exec, exec, s[12:13]
	; wave barrier
	s_and_saveexec_b64 s[12:13], s[6:7]
	s_cbranch_execz .LBB58_18
; %bb.17:                               ;   in Loop: Header=BB58_2 Depth=1
	ds_write_b128 v4, v[0:3]
.LBB58_18:                              ;   in Loop: Header=BB58_2 Depth=1
	;; [unrolled: 20-line block ×3, first 2 shown]
	s_or_b64 exec, exec, s[12:13]
	; wave barrier
	s_and_saveexec_b64 s[12:13], s[10:11]
	s_cbranch_execz .LBB58_24
; %bb.23:                               ;   in Loop: Header=BB58_2 Depth=1
	ds_read_b128 v[0:3], v4
	ds_read_b128 v[8:11], v5 offset:16
	s_waitcnt lgkmcnt(0)
	v_add_co_u32_e32 v0, vcc, v8, v0
	v_addc_co_u32_e32 v1, vcc, v9, v1, vcc
	v_addc_co_u32_e32 v2, vcc, v10, v2, vcc
	;; [unrolled: 1-line block ×3, first 2 shown]
.LBB58_24:                              ;   in Loop: Header=BB58_2 Depth=1
	s_or_b64 exec, exec, s[12:13]
	; wave barrier
	s_and_saveexec_b64 s[12:13], s[10:11]
	s_cbranch_execz .LBB58_1
; %bb.25:                               ;   in Loop: Header=BB58_2 Depth=1
	ds_write_b128 v4, v[0:3]
	s_branch .LBB58_1
.LBB58_26:
	v_mov_b32_e32 v5, s15
	v_add_co_u32_e32 v4, vcc, s14, v6
	v_addc_co_u32_e32 v5, vcc, v5, v7, vcc
	s_waitcnt lgkmcnt(0)
	global_store_dwordx4 v[4:5], v[0:3], off
	s_endpgm
	.section	.rodata,"a",@progbits
	.p2align	6, 0x0
	.amdhsa_kernel _Z18warp_reduce_kernelILb1EnLj61ELj100EEvPKT0_PS0_
		.amdhsa_group_segment_fixed_size 976
		.amdhsa_private_segment_fixed_size 0
		.amdhsa_kernarg_size 272
		.amdhsa_user_sgpr_count 6
		.amdhsa_user_sgpr_private_segment_buffer 1
		.amdhsa_user_sgpr_dispatch_ptr 0
		.amdhsa_user_sgpr_queue_ptr 0
		.amdhsa_user_sgpr_kernarg_segment_ptr 1
		.amdhsa_user_sgpr_dispatch_id 0
		.amdhsa_user_sgpr_flat_scratch_init 0
		.amdhsa_user_sgpr_kernarg_preload_length 0
		.amdhsa_user_sgpr_kernarg_preload_offset 0
		.amdhsa_user_sgpr_private_segment_size 0
		.amdhsa_uses_dynamic_stack 0
		.amdhsa_system_sgpr_private_segment_wavefront_offset 0
		.amdhsa_system_sgpr_workgroup_id_x 1
		.amdhsa_system_sgpr_workgroup_id_y 0
		.amdhsa_system_sgpr_workgroup_id_z 0
		.amdhsa_system_sgpr_workgroup_info 0
		.amdhsa_system_vgpr_workitem_id 0
		.amdhsa_next_free_vgpr 12
		.amdhsa_next_free_sgpr 17
		.amdhsa_accum_offset 12
		.amdhsa_reserve_vcc 1
		.amdhsa_reserve_flat_scratch 0
		.amdhsa_float_round_mode_32 0
		.amdhsa_float_round_mode_16_64 0
		.amdhsa_float_denorm_mode_32 3
		.amdhsa_float_denorm_mode_16_64 3
		.amdhsa_dx10_clamp 1
		.amdhsa_ieee_mode 1
		.amdhsa_fp16_overflow 0
		.amdhsa_tg_split 0
		.amdhsa_exception_fp_ieee_invalid_op 0
		.amdhsa_exception_fp_denorm_src 0
		.amdhsa_exception_fp_ieee_div_zero 0
		.amdhsa_exception_fp_ieee_overflow 0
		.amdhsa_exception_fp_ieee_underflow 0
		.amdhsa_exception_fp_ieee_inexact 0
		.amdhsa_exception_int_div_zero 0
	.end_amdhsa_kernel
	.section	.text._Z18warp_reduce_kernelILb1EnLj61ELj100EEvPKT0_PS0_,"axG",@progbits,_Z18warp_reduce_kernelILb1EnLj61ELj100EEvPKT0_PS0_,comdat
.Lfunc_end58:
	.size	_Z18warp_reduce_kernelILb1EnLj61ELj100EEvPKT0_PS0_, .Lfunc_end58-_Z18warp_reduce_kernelILb1EnLj61ELj100EEvPKT0_PS0_
                                        ; -- End function
	.section	.AMDGPU.csdata,"",@progbits
; Kernel info:
; codeLenInByte = 640
; NumSgprs: 21
; NumVgprs: 12
; NumAgprs: 0
; TotalNumVgprs: 12
; ScratchSize: 0
; MemoryBound: 0
; FloatMode: 240
; IeeeMode: 1
; LDSByteSize: 976 bytes/workgroup (compile time only)
; SGPRBlocks: 2
; VGPRBlocks: 1
; NumSGPRsForWavesPerEU: 21
; NumVGPRsForWavesPerEU: 12
; AccumOffset: 12
; Occupancy: 8
; WaveLimiterHint : 0
; COMPUTE_PGM_RSRC2:SCRATCH_EN: 0
; COMPUTE_PGM_RSRC2:USER_SGPR: 6
; COMPUTE_PGM_RSRC2:TRAP_HANDLER: 0
; COMPUTE_PGM_RSRC2:TGID_X_EN: 1
; COMPUTE_PGM_RSRC2:TGID_Y_EN: 0
; COMPUTE_PGM_RSRC2:TGID_Z_EN: 0
; COMPUTE_PGM_RSRC2:TIDIG_COMP_CNT: 0
; COMPUTE_PGM_RSRC3_GFX90A:ACCUM_OFFSET: 2
; COMPUTE_PGM_RSRC3_GFX90A:TG_SPLIT: 0
	.section	.text._Z18warp_reduce_kernelILb1EnLj64ELj100EEvPKT0_PS0_,"axG",@progbits,_Z18warp_reduce_kernelILb1EnLj64ELj100EEvPKT0_PS0_,comdat
	.protected	_Z18warp_reduce_kernelILb1EnLj64ELj100EEvPKT0_PS0_ ; -- Begin function _Z18warp_reduce_kernelILb1EnLj64ELj100EEvPKT0_PS0_
	.globl	_Z18warp_reduce_kernelILb1EnLj64ELj100EEvPKT0_PS0_
	.p2align	8
	.type	_Z18warp_reduce_kernelILb1EnLj64ELj100EEvPKT0_PS0_,@function
_Z18warp_reduce_kernelILb1EnLj64ELj100EEvPKT0_PS0_: ; @_Z18warp_reduce_kernelILb1EnLj64ELj100EEvPKT0_PS0_
; %bb.0:
	s_load_dword s7, s[4:5], 0x1c
	s_load_dwordx4 s[0:3], s[4:5], 0x0
	v_mov_b32_e32 v1, 0
	v_mbcnt_lo_u32_b32 v6, -1, 0
	v_mbcnt_hi_u32_b32 v6, -1, v6
	s_waitcnt lgkmcnt(0)
	s_and_b32 s4, s7, 0xffff
	s_mul_i32 s6, s6, s4
	v_add_u32_e32 v0, s6, v0
	v_lshlrev_b64 v[4:5], 4, v[0:1]
	v_mov_b32_e32 v1, s1
	v_add_co_u32_e32 v0, vcc, s0, v4
	v_addc_co_u32_e32 v1, vcc, v1, v5, vcc
	global_load_dwordx4 v[0:3], v[0:1], off
	v_bfrev_b32_e32 v7, 0.5
	v_lshl_or_b32 v6, v6, 2, v7
	s_movk_i32 s0, 0x64
.LBB59_1:                               ; =>This Inner Loop Header: Depth=1
	s_waitcnt vmcnt(0) lgkmcnt(3)
	v_mov_b32_dpp v7, v0 quad_perm:[1,0,3,2] row_mask:0xf bank_mask:0xf
	v_add_co_u32_e32 v0, vcc, v0, v7
	s_waitcnt lgkmcnt(2)
	v_mov_b32_dpp v8, v1 quad_perm:[1,0,3,2] row_mask:0xf bank_mask:0xf
	v_addc_co_u32_e32 v1, vcc, 0, v1, vcc
	s_waitcnt lgkmcnt(1)
	v_mov_b32_dpp v9, v2 quad_perm:[1,0,3,2] row_mask:0xf bank_mask:0xf
	v_addc_co_u32_e32 v2, vcc, 0, v2, vcc
	;; [unrolled: 3-line block ×3, first 2 shown]
	v_add_co_u32_e32 v7, vcc, 0, v0
	v_addc_co_u32_e32 v1, vcc, v8, v1, vcc
	v_addc_co_u32_e32 v2, vcc, 0, v2, vcc
	;; [unrolled: 1-line block ×3, first 2 shown]
	v_add_co_u32_e32 v2, vcc, v2, v9
	v_addc_co_u32_e32 v3, vcc, 0, v3, vcc
	v_add_co_u32_e32 v8, vcc, 0, v2
	v_addc_co_u32_e32 v3, vcc, v3, v10, vcc
	v_mov_b32_dpp v0, v0 quad_perm:[2,3,0,1] row_mask:0xf bank_mask:0xf
	v_add_co_u32_e32 v0, vcc, v7, v0
	v_mov_b32_dpp v9, v1 quad_perm:[2,3,0,1] row_mask:0xf bank_mask:0xf
	v_addc_co_u32_e32 v1, vcc, 0, v1, vcc
	v_addc_co_u32_e32 v7, vcc, 0, v8, vcc
	v_mov_b32_dpp v10, v3 quad_perm:[2,3,0,1] row_mask:0xf bank_mask:0xf
	v_addc_co_u32_e32 v3, vcc, 0, v3, vcc
	v_add_co_u32_e32 v8, vcc, 0, v0
	v_addc_co_u32_e32 v1, vcc, v1, v9, vcc
	v_addc_co_u32_e32 v7, vcc, 0, v7, vcc
	v_mov_b32_dpp v2, v2 quad_perm:[2,3,0,1] row_mask:0xf bank_mask:0xf
	v_addc_co_u32_e32 v3, vcc, 0, v3, vcc
	v_add_co_u32_e32 v2, vcc, v7, v2
	v_addc_co_u32_e32 v3, vcc, 0, v3, vcc
	v_add_co_u32_e32 v7, vcc, 0, v2
	v_addc_co_u32_e32 v3, vcc, v3, v10, vcc
	v_mov_b32_dpp v0, v0 row_ror:4 row_mask:0xf bank_mask:0xf
	v_add_co_u32_e32 v0, vcc, v8, v0
	v_mov_b32_dpp v9, v1 row_ror:4 row_mask:0xf bank_mask:0xf
	v_addc_co_u32_e32 v1, vcc, 0, v1, vcc
	v_addc_co_u32_e32 v7, vcc, 0, v7, vcc
	v_mov_b32_dpp v10, v3 row_ror:4 row_mask:0xf bank_mask:0xf
	v_addc_co_u32_e32 v3, vcc, 0, v3, vcc
	v_add_co_u32_e32 v8, vcc, 0, v0
	v_addc_co_u32_e32 v1, vcc, v1, v9, vcc
	v_addc_co_u32_e32 v7, vcc, 0, v7, vcc
	v_mov_b32_dpp v2, v2 row_ror:4 row_mask:0xf bank_mask:0xf
	v_addc_co_u32_e32 v3, vcc, 0, v3, vcc
	v_add_co_u32_e32 v2, vcc, v7, v2
	v_addc_co_u32_e32 v3, vcc, 0, v3, vcc
	v_add_co_u32_e32 v7, vcc, 0, v2
	v_addc_co_u32_e32 v3, vcc, v3, v10, vcc
	v_mov_b32_dpp v0, v0 row_ror:8 row_mask:0xf bank_mask:0xf
	v_add_co_u32_e32 v0, vcc, v8, v0
	v_mov_b32_dpp v9, v1 row_ror:8 row_mask:0xf bank_mask:0xf
	v_addc_co_u32_e32 v1, vcc, 0, v1, vcc
	v_addc_co_u32_e32 v7, vcc, 0, v7, vcc
	v_mov_b32_dpp v10, v3 row_ror:8 row_mask:0xf bank_mask:0xf
	v_addc_co_u32_e32 v3, vcc, 0, v3, vcc
	v_add_co_u32_e32 v8, vcc, 0, v0
	v_addc_co_u32_e32 v1, vcc, v1, v9, vcc
	v_addc_co_u32_e32 v7, vcc, 0, v7, vcc
	v_mov_b32_dpp v2, v2 row_ror:8 row_mask:0xf bank_mask:0xf
	v_addc_co_u32_e32 v3, vcc, 0, v3, vcc
	v_add_co_u32_e32 v2, vcc, v7, v2
	v_addc_co_u32_e32 v3, vcc, 0, v3, vcc
	v_add_co_u32_e32 v7, vcc, 0, v2
	v_addc_co_u32_e32 v3, vcc, v3, v10, vcc
	v_mov_b32_dpp v0, v0 row_bcast:15 row_mask:0xf bank_mask:0xf
	v_mov_b32_dpp v9, v1 row_bcast:15 row_mask:0xf bank_mask:0xf
	v_add_co_u32_e32 v0, vcc, v0, v8
	v_addc_co_u32_e32 v1, vcc, v9, v1, vcc
	v_addc_co_u32_e32 v7, vcc, 0, v7, vcc
	v_mov_b32_dpp v2, v2 row_bcast:15 row_mask:0xf bank_mask:0xf
	v_mov_b32_dpp v10, v3 row_bcast:15 row_mask:0xf bank_mask:0xf
	v_addc_co_u32_e32 v3, vcc, 0, v3, vcc
	v_add_co_u32_e32 v2, vcc, v7, v2
	v_addc_co_u32_e32 v3, vcc, 0, v3, vcc
	v_add_co_u32_e32 v7, vcc, 0, v2
	v_addc_co_u32_e32 v3, vcc, v3, v10, vcc
	v_mov_b32_dpp v8, v0 row_bcast:31 row_mask:0xf bank_mask:0xf
	v_mov_b32_dpp v9, v1 row_bcast:31 row_mask:0xf bank_mask:0xf
	v_add_co_u32_e32 v0, vcc, v8, v0
	v_addc_co_u32_e32 v1, vcc, v9, v1, vcc
	v_addc_co_u32_e32 v7, vcc, 0, v7, vcc
	v_mov_b32_dpp v2, v2 row_bcast:31 row_mask:0xf bank_mask:0xf
	v_mov_b32_dpp v10, v3 row_bcast:31 row_mask:0xf bank_mask:0xf
	v_addc_co_u32_e32 v3, vcc, 0, v3, vcc
	v_add_co_u32_e32 v2, vcc, v7, v2
	v_addc_co_u32_e32 v3, vcc, 0, v3, vcc
	v_add_u32_e32 v3, v10, v3
	ds_bpermute_b32 v0, v6, v0
	ds_bpermute_b32 v1, v6, v1
	;; [unrolled: 1-line block ×4, first 2 shown]
	s_add_i32 s0, s0, -1
	s_cmp_eq_u32 s0, 0
	s_cbranch_scc0 .LBB59_1
; %bb.2:
	v_mov_b32_e32 v6, s3
	v_add_co_u32_e32 v4, vcc, s2, v4
	v_addc_co_u32_e32 v5, vcc, v6, v5, vcc
	s_waitcnt lgkmcnt(0)
	global_store_dwordx4 v[4:5], v[0:3], off
	s_endpgm
	.section	.rodata,"a",@progbits
	.p2align	6, 0x0
	.amdhsa_kernel _Z18warp_reduce_kernelILb1EnLj64ELj100EEvPKT0_PS0_
		.amdhsa_group_segment_fixed_size 0
		.amdhsa_private_segment_fixed_size 0
		.amdhsa_kernarg_size 272
		.amdhsa_user_sgpr_count 6
		.amdhsa_user_sgpr_private_segment_buffer 1
		.amdhsa_user_sgpr_dispatch_ptr 0
		.amdhsa_user_sgpr_queue_ptr 0
		.amdhsa_user_sgpr_kernarg_segment_ptr 1
		.amdhsa_user_sgpr_dispatch_id 0
		.amdhsa_user_sgpr_flat_scratch_init 0
		.amdhsa_user_sgpr_kernarg_preload_length 0
		.amdhsa_user_sgpr_kernarg_preload_offset 0
		.amdhsa_user_sgpr_private_segment_size 0
		.amdhsa_uses_dynamic_stack 0
		.amdhsa_system_sgpr_private_segment_wavefront_offset 0
		.amdhsa_system_sgpr_workgroup_id_x 1
		.amdhsa_system_sgpr_workgroup_id_y 0
		.amdhsa_system_sgpr_workgroup_id_z 0
		.amdhsa_system_sgpr_workgroup_info 0
		.amdhsa_system_vgpr_workitem_id 0
		.amdhsa_next_free_vgpr 11
		.amdhsa_next_free_sgpr 8
		.amdhsa_accum_offset 12
		.amdhsa_reserve_vcc 1
		.amdhsa_reserve_flat_scratch 0
		.amdhsa_float_round_mode_32 0
		.amdhsa_float_round_mode_16_64 0
		.amdhsa_float_denorm_mode_32 3
		.amdhsa_float_denorm_mode_16_64 3
		.amdhsa_dx10_clamp 1
		.amdhsa_ieee_mode 1
		.amdhsa_fp16_overflow 0
		.amdhsa_tg_split 0
		.amdhsa_exception_fp_ieee_invalid_op 0
		.amdhsa_exception_fp_denorm_src 0
		.amdhsa_exception_fp_ieee_div_zero 0
		.amdhsa_exception_fp_ieee_overflow 0
		.amdhsa_exception_fp_ieee_underflow 0
		.amdhsa_exception_fp_ieee_inexact 0
		.amdhsa_exception_int_div_zero 0
	.end_amdhsa_kernel
	.section	.text._Z18warp_reduce_kernelILb1EnLj64ELj100EEvPKT0_PS0_,"axG",@progbits,_Z18warp_reduce_kernelILb1EnLj64ELj100EEvPKT0_PS0_,comdat
.Lfunc_end59:
	.size	_Z18warp_reduce_kernelILb1EnLj64ELj100EEvPKT0_PS0_, .Lfunc_end59-_Z18warp_reduce_kernelILb1EnLj64ELj100EEvPKT0_PS0_
                                        ; -- End function
	.section	.AMDGPU.csdata,"",@progbits
; Kernel info:
; codeLenInByte = 632
; NumSgprs: 12
; NumVgprs: 11
; NumAgprs: 0
; TotalNumVgprs: 11
; ScratchSize: 0
; MemoryBound: 0
; FloatMode: 240
; IeeeMode: 1
; LDSByteSize: 0 bytes/workgroup (compile time only)
; SGPRBlocks: 1
; VGPRBlocks: 1
; NumSGPRsForWavesPerEU: 12
; NumVGPRsForWavesPerEU: 11
; AccumOffset: 12
; Occupancy: 8
; WaveLimiterHint : 0
; COMPUTE_PGM_RSRC2:SCRATCH_EN: 0
; COMPUTE_PGM_RSRC2:USER_SGPR: 6
; COMPUTE_PGM_RSRC2:TRAP_HANDLER: 0
; COMPUTE_PGM_RSRC2:TGID_X_EN: 1
; COMPUTE_PGM_RSRC2:TGID_Y_EN: 0
; COMPUTE_PGM_RSRC2:TGID_Z_EN: 0
; COMPUTE_PGM_RSRC2:TIDIG_COMP_CNT: 0
; COMPUTE_PGM_RSRC3_GFX90A:ACCUM_OFFSET: 2
; COMPUTE_PGM_RSRC3_GFX90A:TG_SPLIT: 0
	.section	.text._Z18warp_reduce_kernelILb1EoLj32ELj100EEvPKT0_PS0_,"axG",@progbits,_Z18warp_reduce_kernelILb1EoLj32ELj100EEvPKT0_PS0_,comdat
	.protected	_Z18warp_reduce_kernelILb1EoLj32ELj100EEvPKT0_PS0_ ; -- Begin function _Z18warp_reduce_kernelILb1EoLj32ELj100EEvPKT0_PS0_
	.globl	_Z18warp_reduce_kernelILb1EoLj32ELj100EEvPKT0_PS0_
	.p2align	8
	.type	_Z18warp_reduce_kernelILb1EoLj32ELj100EEvPKT0_PS0_,@function
_Z18warp_reduce_kernelILb1EoLj32ELj100EEvPKT0_PS0_: ; @_Z18warp_reduce_kernelILb1EoLj32ELj100EEvPKT0_PS0_
; %bb.0:
	s_load_dword s7, s[4:5], 0x1c
	s_load_dwordx4 s[0:3], s[4:5], 0x0
	v_mov_b32_e32 v1, 0
	v_mbcnt_lo_u32_b32 v6, -1, 0
	v_mbcnt_hi_u32_b32 v11, -1, v6
	s_waitcnt lgkmcnt(0)
	s_and_b32 s4, s7, 0xffff
	s_mul_i32 s6, s6, s4
	v_add_u32_e32 v0, s6, v0
	v_lshlrev_b64 v[4:5], 4, v[0:1]
	v_mov_b32_e32 v1, s1
	v_add_co_u32_e32 v0, vcc, s0, v4
	v_addc_co_u32_e32 v1, vcc, v1, v5, vcc
	global_load_dwordx4 v[0:3], v[0:1], off
	v_and_b32_e32 v10, 31, v11
	v_cmp_ne_u32_e32 vcc, 31, v10
	v_addc_co_u32_e32 v6, vcc, 0, v11, vcc
	v_cmp_gt_u32_e32 vcc, 30, v10
	v_cndmask_b32_e64 v7, 0, 1, vcc
	v_cmp_gt_u32_e32 vcc, 28, v10
	v_cndmask_b32_e64 v8, 0, 1, vcc
	;; [unrolled: 2-line block ×4, first 2 shown]
	v_lshlrev_b32_e32 v7, 1, v7
	v_lshlrev_b32_e32 v8, 2, v8
	;; [unrolled: 1-line block ×4, first 2 shown]
	v_add_lshl_u32 v7, v7, v11, 2
	v_add_lshl_u32 v8, v8, v11, 2
	;; [unrolled: 1-line block ×4, first 2 shown]
	v_lshlrev_b32_e32 v11, 2, v11
	v_lshlrev_b32_e32 v6, 2, v6
	v_and_b32_e32 v11, 0x180, v11
	s_movk_i32 s0, 0x64
.LBB60_1:                               ; =>This Inner Loop Header: Depth=1
	s_waitcnt vmcnt(0) lgkmcnt(3)
	ds_bpermute_b32 v12, v6, v0
	s_waitcnt lgkmcnt(3)
	ds_bpermute_b32 v13, v6, v1
	s_waitcnt lgkmcnt(3)
	;; [unrolled: 2-line block ×3, first 2 shown]
	ds_bpermute_b32 v15, v6, v3
	s_add_i32 s0, s0, -1
	s_waitcnt lgkmcnt(3)
	v_add_co_u32_e32 v0, vcc, v0, v12
	v_addc_co_u32_e32 v1, vcc, 0, v1, vcc
	v_addc_co_u32_e32 v2, vcc, 0, v2, vcc
	;; [unrolled: 1-line block ×3, first 2 shown]
	v_add_co_u32_e32 v12, vcc, 0, v0
	s_waitcnt lgkmcnt(2)
	v_addc_co_u32_e32 v1, vcc, v13, v1, vcc
	v_addc_co_u32_e32 v2, vcc, 0, v2, vcc
	v_addc_co_u32_e32 v3, vcc, 0, v3, vcc
	ds_bpermute_b32 v0, v7, v0
	s_waitcnt lgkmcnt(2)
	v_add_co_u32_e32 v2, vcc, v2, v14
	v_addc_co_u32_e32 v3, vcc, 0, v3, vcc
	v_add_co_u32_e32 v13, vcc, 0, v2
	s_waitcnt lgkmcnt(1)
	v_addc_co_u32_e32 v3, vcc, v3, v15, vcc
	ds_bpermute_b32 v14, v7, v1
	s_waitcnt lgkmcnt(1)
	v_add_co_u32_e32 v0, vcc, v12, v0
	v_addc_co_u32_e32 v1, vcc, 0, v1, vcc
	v_addc_co_u32_e32 v12, vcc, 0, v13, vcc
	ds_bpermute_b32 v2, v7, v2
	ds_bpermute_b32 v15, v7, v3
	v_addc_co_u32_e32 v3, vcc, 0, v3, vcc
	v_add_co_u32_e32 v13, vcc, 0, v0
	s_waitcnt lgkmcnt(2)
	v_addc_co_u32_e32 v1, vcc, v1, v14, vcc
	v_addc_co_u32_e32 v12, vcc, 0, v12, vcc
	v_addc_co_u32_e32 v3, vcc, 0, v3, vcc
	ds_bpermute_b32 v0, v8, v0
	s_waitcnt lgkmcnt(2)
	v_add_co_u32_e32 v2, vcc, v12, v2
	v_addc_co_u32_e32 v3, vcc, 0, v3, vcc
	v_add_co_u32_e32 v12, vcc, 0, v2
	s_waitcnt lgkmcnt(1)
	v_addc_co_u32_e32 v3, vcc, v3, v15, vcc
	ds_bpermute_b32 v14, v8, v1
	s_waitcnt lgkmcnt(1)
	v_add_co_u32_e32 v0, vcc, v13, v0
	v_addc_co_u32_e32 v1, vcc, 0, v1, vcc
	v_addc_co_u32_e32 v12, vcc, 0, v12, vcc
	ds_bpermute_b32 v2, v8, v2
	ds_bpermute_b32 v15, v8, v3
	v_addc_co_u32_e32 v3, vcc, 0, v3, vcc
	;; [unrolled: 20-line block ×4, first 2 shown]
	v_add_co_u32_e32 v13, vcc, 0, v0
	s_waitcnt lgkmcnt(2)
	v_addc_co_u32_e32 v1, vcc, v1, v14, vcc
	v_addc_co_u32_e32 v12, vcc, 0, v12, vcc
	;; [unrolled: 1-line block ×3, first 2 shown]
	s_waitcnt lgkmcnt(1)
	v_add_co_u32_e32 v2, vcc, v12, v2
	v_addc_co_u32_e32 v3, vcc, 0, v3, vcc
	s_waitcnt lgkmcnt(0)
	v_add_u32_e32 v3, v15, v3
	ds_bpermute_b32 v0, v11, v0
	ds_bpermute_b32 v1, v11, v1
	;; [unrolled: 1-line block ×4, first 2 shown]
	s_cmp_eq_u32 s0, 0
	s_cbranch_scc0 .LBB60_1
; %bb.2:
	v_mov_b32_e32 v6, s3
	v_add_co_u32_e32 v4, vcc, s2, v4
	v_addc_co_u32_e32 v5, vcc, v6, v5, vcc
	s_waitcnt lgkmcnt(0)
	global_store_dwordx4 v[4:5], v[0:3], off
	s_endpgm
	.section	.rodata,"a",@progbits
	.p2align	6, 0x0
	.amdhsa_kernel _Z18warp_reduce_kernelILb1EoLj32ELj100EEvPKT0_PS0_
		.amdhsa_group_segment_fixed_size 0
		.amdhsa_private_segment_fixed_size 0
		.amdhsa_kernarg_size 272
		.amdhsa_user_sgpr_count 6
		.amdhsa_user_sgpr_private_segment_buffer 1
		.amdhsa_user_sgpr_dispatch_ptr 0
		.amdhsa_user_sgpr_queue_ptr 0
		.amdhsa_user_sgpr_kernarg_segment_ptr 1
		.amdhsa_user_sgpr_dispatch_id 0
		.amdhsa_user_sgpr_flat_scratch_init 0
		.amdhsa_user_sgpr_kernarg_preload_length 0
		.amdhsa_user_sgpr_kernarg_preload_offset 0
		.amdhsa_user_sgpr_private_segment_size 0
		.amdhsa_uses_dynamic_stack 0
		.amdhsa_system_sgpr_private_segment_wavefront_offset 0
		.amdhsa_system_sgpr_workgroup_id_x 1
		.amdhsa_system_sgpr_workgroup_id_y 0
		.amdhsa_system_sgpr_workgroup_id_z 0
		.amdhsa_system_sgpr_workgroup_info 0
		.amdhsa_system_vgpr_workitem_id 0
		.amdhsa_next_free_vgpr 16
		.amdhsa_next_free_sgpr 8
		.amdhsa_accum_offset 16
		.amdhsa_reserve_vcc 1
		.amdhsa_reserve_flat_scratch 0
		.amdhsa_float_round_mode_32 0
		.amdhsa_float_round_mode_16_64 0
		.amdhsa_float_denorm_mode_32 3
		.amdhsa_float_denorm_mode_16_64 3
		.amdhsa_dx10_clamp 1
		.amdhsa_ieee_mode 1
		.amdhsa_fp16_overflow 0
		.amdhsa_tg_split 0
		.amdhsa_exception_fp_ieee_invalid_op 0
		.amdhsa_exception_fp_denorm_src 0
		.amdhsa_exception_fp_ieee_div_zero 0
		.amdhsa_exception_fp_ieee_overflow 0
		.amdhsa_exception_fp_ieee_underflow 0
		.amdhsa_exception_fp_ieee_inexact 0
		.amdhsa_exception_int_div_zero 0
	.end_amdhsa_kernel
	.section	.text._Z18warp_reduce_kernelILb1EoLj32ELj100EEvPKT0_PS0_,"axG",@progbits,_Z18warp_reduce_kernelILb1EoLj32ELj100EEvPKT0_PS0_,comdat
.Lfunc_end60:
	.size	_Z18warp_reduce_kernelILb1EoLj32ELj100EEvPKT0_PS0_, .Lfunc_end60-_Z18warp_reduce_kernelILb1EoLj32ELj100EEvPKT0_PS0_
                                        ; -- End function
	.section	.AMDGPU.csdata,"",@progbits
; Kernel info:
; codeLenInByte = 776
; NumSgprs: 12
; NumVgprs: 16
; NumAgprs: 0
; TotalNumVgprs: 16
; ScratchSize: 0
; MemoryBound: 0
; FloatMode: 240
; IeeeMode: 1
; LDSByteSize: 0 bytes/workgroup (compile time only)
; SGPRBlocks: 1
; VGPRBlocks: 1
; NumSGPRsForWavesPerEU: 12
; NumVGPRsForWavesPerEU: 16
; AccumOffset: 16
; Occupancy: 8
; WaveLimiterHint : 0
; COMPUTE_PGM_RSRC2:SCRATCH_EN: 0
; COMPUTE_PGM_RSRC2:USER_SGPR: 6
; COMPUTE_PGM_RSRC2:TRAP_HANDLER: 0
; COMPUTE_PGM_RSRC2:TGID_X_EN: 1
; COMPUTE_PGM_RSRC2:TGID_Y_EN: 0
; COMPUTE_PGM_RSRC2:TGID_Z_EN: 0
; COMPUTE_PGM_RSRC2:TIDIG_COMP_CNT: 0
; COMPUTE_PGM_RSRC3_GFX90A:ACCUM_OFFSET: 3
; COMPUTE_PGM_RSRC3_GFX90A:TG_SPLIT: 0
	.section	.text._Z18warp_reduce_kernelILb1EoLj37ELj100EEvPKT0_PS0_,"axG",@progbits,_Z18warp_reduce_kernelILb1EoLj37ELj100EEvPKT0_PS0_,comdat
	.protected	_Z18warp_reduce_kernelILb1EoLj37ELj100EEvPKT0_PS0_ ; -- Begin function _Z18warp_reduce_kernelILb1EoLj37ELj100EEvPKT0_PS0_
	.globl	_Z18warp_reduce_kernelILb1EoLj37ELj100EEvPKT0_PS0_
	.p2align	8
	.type	_Z18warp_reduce_kernelILb1EoLj37ELj100EEvPKT0_PS0_,@function
_Z18warp_reduce_kernelILb1EoLj37ELj100EEvPKT0_PS0_: ; @_Z18warp_reduce_kernelILb1EoLj37ELj100EEvPKT0_PS0_
; %bb.0:
	s_load_dword s0, s[4:5], 0x1c
	s_load_dwordx4 s[12:15], s[4:5], 0x0
	v_mov_b32_e32 v5, 0
	s_movk_i32 s16, 0x64
	s_waitcnt lgkmcnt(0)
	s_and_b32 s0, s0, 0xffff
	s_mul_i32 s6, s6, s0
	v_add_u32_e32 v4, s6, v0
	v_lshlrev_b64 v[6:7], 4, v[4:5]
	v_mov_b32_e32 v1, s13
	v_add_co_u32_e32 v0, vcc, s12, v6
	v_addc_co_u32_e32 v1, vcc, v1, v7, vcc
	global_load_dwordx4 v[0:3], v[0:1], off
	v_mbcnt_lo_u32_b32 v4, -1, 0
	v_mbcnt_hi_u32_b32 v4, -1, v4
	s_mov_b32 s0, 0x6eb3e46
	v_mul_hi_u32 v8, v4, s0
	v_mul_u32_u24_e32 v8, 37, v8
	v_sub_u32_e32 v8, v4, v8
	v_lshlrev_b32_e32 v4, 4, v8
	v_cmp_gt_u32_e64 s[0:1], 5, v8
	v_cmp_gt_u32_e64 s[2:3], 16, v8
	;; [unrolled: 1-line block ×5, first 2 shown]
	v_cmp_eq_u32_e64 s[10:11], 0, v8
	s_branch .LBB61_2
.LBB61_1:                               ;   in Loop: Header=BB61_2 Depth=1
	s_or_b64 exec, exec, s[12:13]
	; wave barrier
	ds_read_b128 v[0:3], v5
	s_add_i32 s16, s16, -1
	s_cmp_eq_u32 s16, 0
	s_cbranch_scc1 .LBB61_26
.LBB61_2:                               ; =>This Inner Loop Header: Depth=1
	s_waitcnt vmcnt(0) lgkmcnt(0)
	ds_write_b128 v4, v[0:3]
	; wave barrier
	s_and_saveexec_b64 s[12:13], s[0:1]
	s_cbranch_execz .LBB61_4
; %bb.3:                                ;   in Loop: Header=BB61_2 Depth=1
	ds_read_b128 v[0:3], v4
	ds_read_b128 v[8:11], v4 offset:512
	s_waitcnt lgkmcnt(0)
	v_add_co_u32_e32 v0, vcc, v8, v0
	v_addc_co_u32_e32 v1, vcc, v9, v1, vcc
	v_addc_co_u32_e32 v2, vcc, v10, v2, vcc
	;; [unrolled: 1-line block ×3, first 2 shown]
.LBB61_4:                               ;   in Loop: Header=BB61_2 Depth=1
	s_or_b64 exec, exec, s[12:13]
	; wave barrier
	s_and_saveexec_b64 s[12:13], s[0:1]
	s_cbranch_execz .LBB61_6
; %bb.5:                                ;   in Loop: Header=BB61_2 Depth=1
	ds_write_b128 v4, v[0:3]
.LBB61_6:                               ;   in Loop: Header=BB61_2 Depth=1
	s_or_b64 exec, exec, s[12:13]
	; wave barrier
	s_and_saveexec_b64 s[12:13], s[2:3]
	s_cbranch_execz .LBB61_8
; %bb.7:                                ;   in Loop: Header=BB61_2 Depth=1
	ds_read_b128 v[0:3], v4
	ds_read_b128 v[8:11], v4 offset:256
	s_waitcnt lgkmcnt(0)
	v_add_co_u32_e32 v0, vcc, v8, v0
	v_addc_co_u32_e32 v1, vcc, v9, v1, vcc
	v_addc_co_u32_e32 v2, vcc, v10, v2, vcc
	;; [unrolled: 1-line block ×3, first 2 shown]
.LBB61_8:                               ;   in Loop: Header=BB61_2 Depth=1
	s_or_b64 exec, exec, s[12:13]
	; wave barrier
	s_and_saveexec_b64 s[12:13], s[2:3]
	s_cbranch_execz .LBB61_10
; %bb.9:                                ;   in Loop: Header=BB61_2 Depth=1
	ds_write_b128 v4, v[0:3]
.LBB61_10:                              ;   in Loop: Header=BB61_2 Depth=1
	s_or_b64 exec, exec, s[12:13]
	; wave barrier
	s_and_saveexec_b64 s[12:13], s[4:5]
	s_cbranch_execz .LBB61_12
; %bb.11:                               ;   in Loop: Header=BB61_2 Depth=1
	ds_read_b128 v[0:3], v4
	ds_read_b128 v[8:11], v4 offset:128
	s_waitcnt lgkmcnt(0)
	v_add_co_u32_e32 v0, vcc, v8, v0
	v_addc_co_u32_e32 v1, vcc, v9, v1, vcc
	v_addc_co_u32_e32 v2, vcc, v10, v2, vcc
	v_addc_co_u32_e32 v3, vcc, v11, v3, vcc
.LBB61_12:                              ;   in Loop: Header=BB61_2 Depth=1
	s_or_b64 exec, exec, s[12:13]
	; wave barrier
	s_and_saveexec_b64 s[12:13], s[4:5]
	s_cbranch_execz .LBB61_14
; %bb.13:                               ;   in Loop: Header=BB61_2 Depth=1
	ds_write_b128 v4, v[0:3]
.LBB61_14:                              ;   in Loop: Header=BB61_2 Depth=1
	s_or_b64 exec, exec, s[12:13]
	; wave barrier
	s_and_saveexec_b64 s[12:13], s[6:7]
	s_cbranch_execz .LBB61_16
; %bb.15:                               ;   in Loop: Header=BB61_2 Depth=1
	ds_read_b128 v[0:3], v4
	ds_read_b128 v[8:11], v4 offset:64
	s_waitcnt lgkmcnt(0)
	v_add_co_u32_e32 v0, vcc, v8, v0
	v_addc_co_u32_e32 v1, vcc, v9, v1, vcc
	v_addc_co_u32_e32 v2, vcc, v10, v2, vcc
	v_addc_co_u32_e32 v3, vcc, v11, v3, vcc
.LBB61_16:                              ;   in Loop: Header=BB61_2 Depth=1
	s_or_b64 exec, exec, s[12:13]
	; wave barrier
	s_and_saveexec_b64 s[12:13], s[6:7]
	s_cbranch_execz .LBB61_18
; %bb.17:                               ;   in Loop: Header=BB61_2 Depth=1
	ds_write_b128 v4, v[0:3]
.LBB61_18:                              ;   in Loop: Header=BB61_2 Depth=1
	;; [unrolled: 20-line block ×3, first 2 shown]
	s_or_b64 exec, exec, s[12:13]
	; wave barrier
	s_and_saveexec_b64 s[12:13], s[10:11]
	s_cbranch_execz .LBB61_24
; %bb.23:                               ;   in Loop: Header=BB61_2 Depth=1
	ds_read_b128 v[0:3], v4
	ds_read_b128 v[8:11], v5 offset:16
	s_waitcnt lgkmcnt(0)
	v_add_co_u32_e32 v0, vcc, v8, v0
	v_addc_co_u32_e32 v1, vcc, v9, v1, vcc
	v_addc_co_u32_e32 v2, vcc, v10, v2, vcc
	;; [unrolled: 1-line block ×3, first 2 shown]
.LBB61_24:                              ;   in Loop: Header=BB61_2 Depth=1
	s_or_b64 exec, exec, s[12:13]
	; wave barrier
	s_and_saveexec_b64 s[12:13], s[10:11]
	s_cbranch_execz .LBB61_1
; %bb.25:                               ;   in Loop: Header=BB61_2 Depth=1
	ds_write_b128 v4, v[0:3]
	s_branch .LBB61_1
.LBB61_26:
	v_mov_b32_e32 v5, s15
	v_add_co_u32_e32 v4, vcc, s14, v6
	v_addc_co_u32_e32 v5, vcc, v5, v7, vcc
	s_waitcnt lgkmcnt(0)
	global_store_dwordx4 v[4:5], v[0:3], off
	s_endpgm
	.section	.rodata,"a",@progbits
	.p2align	6, 0x0
	.amdhsa_kernel _Z18warp_reduce_kernelILb1EoLj37ELj100EEvPKT0_PS0_
		.amdhsa_group_segment_fixed_size 592
		.amdhsa_private_segment_fixed_size 0
		.amdhsa_kernarg_size 272
		.amdhsa_user_sgpr_count 6
		.amdhsa_user_sgpr_private_segment_buffer 1
		.amdhsa_user_sgpr_dispatch_ptr 0
		.amdhsa_user_sgpr_queue_ptr 0
		.amdhsa_user_sgpr_kernarg_segment_ptr 1
		.amdhsa_user_sgpr_dispatch_id 0
		.amdhsa_user_sgpr_flat_scratch_init 0
		.amdhsa_user_sgpr_kernarg_preload_length 0
		.amdhsa_user_sgpr_kernarg_preload_offset 0
		.amdhsa_user_sgpr_private_segment_size 0
		.amdhsa_uses_dynamic_stack 0
		.amdhsa_system_sgpr_private_segment_wavefront_offset 0
		.amdhsa_system_sgpr_workgroup_id_x 1
		.amdhsa_system_sgpr_workgroup_id_y 0
		.amdhsa_system_sgpr_workgroup_id_z 0
		.amdhsa_system_sgpr_workgroup_info 0
		.amdhsa_system_vgpr_workitem_id 0
		.amdhsa_next_free_vgpr 12
		.amdhsa_next_free_sgpr 17
		.amdhsa_accum_offset 12
		.amdhsa_reserve_vcc 1
		.amdhsa_reserve_flat_scratch 0
		.amdhsa_float_round_mode_32 0
		.amdhsa_float_round_mode_16_64 0
		.amdhsa_float_denorm_mode_32 3
		.amdhsa_float_denorm_mode_16_64 3
		.amdhsa_dx10_clamp 1
		.amdhsa_ieee_mode 1
		.amdhsa_fp16_overflow 0
		.amdhsa_tg_split 0
		.amdhsa_exception_fp_ieee_invalid_op 0
		.amdhsa_exception_fp_denorm_src 0
		.amdhsa_exception_fp_ieee_div_zero 0
		.amdhsa_exception_fp_ieee_overflow 0
		.amdhsa_exception_fp_ieee_underflow 0
		.amdhsa_exception_fp_ieee_inexact 0
		.amdhsa_exception_int_div_zero 0
	.end_amdhsa_kernel
	.section	.text._Z18warp_reduce_kernelILb1EoLj37ELj100EEvPKT0_PS0_,"axG",@progbits,_Z18warp_reduce_kernelILb1EoLj37ELj100EEvPKT0_PS0_,comdat
.Lfunc_end61:
	.size	_Z18warp_reduce_kernelILb1EoLj37ELj100EEvPKT0_PS0_, .Lfunc_end61-_Z18warp_reduce_kernelILb1EoLj37ELj100EEvPKT0_PS0_
                                        ; -- End function
	.section	.AMDGPU.csdata,"",@progbits
; Kernel info:
; codeLenInByte = 640
; NumSgprs: 21
; NumVgprs: 12
; NumAgprs: 0
; TotalNumVgprs: 12
; ScratchSize: 0
; MemoryBound: 0
; FloatMode: 240
; IeeeMode: 1
; LDSByteSize: 592 bytes/workgroup (compile time only)
; SGPRBlocks: 2
; VGPRBlocks: 1
; NumSGPRsForWavesPerEU: 21
; NumVGPRsForWavesPerEU: 12
; AccumOffset: 12
; Occupancy: 8
; WaveLimiterHint : 0
; COMPUTE_PGM_RSRC2:SCRATCH_EN: 0
; COMPUTE_PGM_RSRC2:USER_SGPR: 6
; COMPUTE_PGM_RSRC2:TRAP_HANDLER: 0
; COMPUTE_PGM_RSRC2:TGID_X_EN: 1
; COMPUTE_PGM_RSRC2:TGID_Y_EN: 0
; COMPUTE_PGM_RSRC2:TGID_Z_EN: 0
; COMPUTE_PGM_RSRC2:TIDIG_COMP_CNT: 0
; COMPUTE_PGM_RSRC3_GFX90A:ACCUM_OFFSET: 2
; COMPUTE_PGM_RSRC3_GFX90A:TG_SPLIT: 0
	.section	.text._Z18warp_reduce_kernelILb1EoLj61ELj100EEvPKT0_PS0_,"axG",@progbits,_Z18warp_reduce_kernelILb1EoLj61ELj100EEvPKT0_PS0_,comdat
	.protected	_Z18warp_reduce_kernelILb1EoLj61ELj100EEvPKT0_PS0_ ; -- Begin function _Z18warp_reduce_kernelILb1EoLj61ELj100EEvPKT0_PS0_
	.globl	_Z18warp_reduce_kernelILb1EoLj61ELj100EEvPKT0_PS0_
	.p2align	8
	.type	_Z18warp_reduce_kernelILb1EoLj61ELj100EEvPKT0_PS0_,@function
_Z18warp_reduce_kernelILb1EoLj61ELj100EEvPKT0_PS0_: ; @_Z18warp_reduce_kernelILb1EoLj61ELj100EEvPKT0_PS0_
; %bb.0:
	s_load_dword s0, s[4:5], 0x1c
	s_load_dwordx4 s[12:15], s[4:5], 0x0
	v_mov_b32_e32 v5, 0
	s_movk_i32 s16, 0x64
	s_waitcnt lgkmcnt(0)
	s_and_b32 s0, s0, 0xffff
	s_mul_i32 s6, s6, s0
	v_add_u32_e32 v4, s6, v0
	v_lshlrev_b64 v[6:7], 4, v[4:5]
	v_mov_b32_e32 v1, s13
	v_add_co_u32_e32 v0, vcc, s12, v6
	v_addc_co_u32_e32 v1, vcc, v1, v7, vcc
	global_load_dwordx4 v[0:3], v[0:1], off
	v_mbcnt_lo_u32_b32 v4, -1, 0
	v_mbcnt_hi_u32_b32 v4, -1, v4
	s_mov_b32 s0, 0x4325c54
	v_mul_hi_u32 v8, v4, s0
	v_mul_u32_u24_e32 v8, 61, v8
	v_sub_u32_e32 v8, v4, v8
	v_lshlrev_b32_e32 v4, 4, v8
	v_cmp_gt_u32_e64 s[0:1], 29, v8
	v_cmp_gt_u32_e64 s[2:3], 16, v8
	;; [unrolled: 1-line block ×5, first 2 shown]
	v_cmp_eq_u32_e64 s[10:11], 0, v8
	s_branch .LBB62_2
.LBB62_1:                               ;   in Loop: Header=BB62_2 Depth=1
	s_or_b64 exec, exec, s[12:13]
	; wave barrier
	ds_read_b128 v[0:3], v5
	s_add_i32 s16, s16, -1
	s_cmp_eq_u32 s16, 0
	s_cbranch_scc1 .LBB62_26
.LBB62_2:                               ; =>This Inner Loop Header: Depth=1
	s_waitcnt vmcnt(0) lgkmcnt(0)
	ds_write_b128 v4, v[0:3]
	; wave barrier
	s_and_saveexec_b64 s[12:13], s[0:1]
	s_cbranch_execz .LBB62_4
; %bb.3:                                ;   in Loop: Header=BB62_2 Depth=1
	ds_read_b128 v[0:3], v4
	ds_read_b128 v[8:11], v4 offset:512
	s_waitcnt lgkmcnt(0)
	v_add_co_u32_e32 v0, vcc, v8, v0
	v_addc_co_u32_e32 v1, vcc, v9, v1, vcc
	v_addc_co_u32_e32 v2, vcc, v10, v2, vcc
	;; [unrolled: 1-line block ×3, first 2 shown]
.LBB62_4:                               ;   in Loop: Header=BB62_2 Depth=1
	s_or_b64 exec, exec, s[12:13]
	; wave barrier
	s_and_saveexec_b64 s[12:13], s[0:1]
	s_cbranch_execz .LBB62_6
; %bb.5:                                ;   in Loop: Header=BB62_2 Depth=1
	ds_write_b128 v4, v[0:3]
.LBB62_6:                               ;   in Loop: Header=BB62_2 Depth=1
	s_or_b64 exec, exec, s[12:13]
	; wave barrier
	s_and_saveexec_b64 s[12:13], s[2:3]
	s_cbranch_execz .LBB62_8
; %bb.7:                                ;   in Loop: Header=BB62_2 Depth=1
	ds_read_b128 v[0:3], v4
	ds_read_b128 v[8:11], v4 offset:256
	s_waitcnt lgkmcnt(0)
	v_add_co_u32_e32 v0, vcc, v8, v0
	v_addc_co_u32_e32 v1, vcc, v9, v1, vcc
	v_addc_co_u32_e32 v2, vcc, v10, v2, vcc
	;; [unrolled: 1-line block ×3, first 2 shown]
.LBB62_8:                               ;   in Loop: Header=BB62_2 Depth=1
	s_or_b64 exec, exec, s[12:13]
	; wave barrier
	s_and_saveexec_b64 s[12:13], s[2:3]
	s_cbranch_execz .LBB62_10
; %bb.9:                                ;   in Loop: Header=BB62_2 Depth=1
	ds_write_b128 v4, v[0:3]
.LBB62_10:                              ;   in Loop: Header=BB62_2 Depth=1
	s_or_b64 exec, exec, s[12:13]
	; wave barrier
	s_and_saveexec_b64 s[12:13], s[4:5]
	s_cbranch_execz .LBB62_12
; %bb.11:                               ;   in Loop: Header=BB62_2 Depth=1
	ds_read_b128 v[0:3], v4
	ds_read_b128 v[8:11], v4 offset:128
	s_waitcnt lgkmcnt(0)
	v_add_co_u32_e32 v0, vcc, v8, v0
	v_addc_co_u32_e32 v1, vcc, v9, v1, vcc
	v_addc_co_u32_e32 v2, vcc, v10, v2, vcc
	v_addc_co_u32_e32 v3, vcc, v11, v3, vcc
.LBB62_12:                              ;   in Loop: Header=BB62_2 Depth=1
	s_or_b64 exec, exec, s[12:13]
	; wave barrier
	s_and_saveexec_b64 s[12:13], s[4:5]
	s_cbranch_execz .LBB62_14
; %bb.13:                               ;   in Loop: Header=BB62_2 Depth=1
	ds_write_b128 v4, v[0:3]
.LBB62_14:                              ;   in Loop: Header=BB62_2 Depth=1
	s_or_b64 exec, exec, s[12:13]
	; wave barrier
	s_and_saveexec_b64 s[12:13], s[6:7]
	s_cbranch_execz .LBB62_16
; %bb.15:                               ;   in Loop: Header=BB62_2 Depth=1
	ds_read_b128 v[0:3], v4
	ds_read_b128 v[8:11], v4 offset:64
	s_waitcnt lgkmcnt(0)
	v_add_co_u32_e32 v0, vcc, v8, v0
	v_addc_co_u32_e32 v1, vcc, v9, v1, vcc
	v_addc_co_u32_e32 v2, vcc, v10, v2, vcc
	v_addc_co_u32_e32 v3, vcc, v11, v3, vcc
.LBB62_16:                              ;   in Loop: Header=BB62_2 Depth=1
	s_or_b64 exec, exec, s[12:13]
	; wave barrier
	s_and_saveexec_b64 s[12:13], s[6:7]
	s_cbranch_execz .LBB62_18
; %bb.17:                               ;   in Loop: Header=BB62_2 Depth=1
	ds_write_b128 v4, v[0:3]
.LBB62_18:                              ;   in Loop: Header=BB62_2 Depth=1
	s_or_b64 exec, exec, s[12:13]
	; wave barrier
	s_and_saveexec_b64 s[12:13], s[8:9]
	s_cbranch_execz .LBB62_20
; %bb.19:                               ;   in Loop: Header=BB62_2 Depth=1
	ds_read_b128 v[0:3], v4
	ds_read_b128 v[8:11], v4 offset:32
	s_waitcnt lgkmcnt(0)
	v_add_co_u32_e32 v0, vcc, v8, v0
	v_addc_co_u32_e32 v1, vcc, v9, v1, vcc
	v_addc_co_u32_e32 v2, vcc, v10, v2, vcc
	v_addc_co_u32_e32 v3, vcc, v11, v3, vcc
.LBB62_20:                              ;   in Loop: Header=BB62_2 Depth=1
	s_or_b64 exec, exec, s[12:13]
	; wave barrier
	s_and_saveexec_b64 s[12:13], s[8:9]
	s_cbranch_execz .LBB62_22
; %bb.21:                               ;   in Loop: Header=BB62_2 Depth=1
	ds_write_b128 v4, v[0:3]
.LBB62_22:                              ;   in Loop: Header=BB62_2 Depth=1
	s_or_b64 exec, exec, s[12:13]
	; wave barrier
	s_and_saveexec_b64 s[12:13], s[10:11]
	s_cbranch_execz .LBB62_24
; %bb.23:                               ;   in Loop: Header=BB62_2 Depth=1
	ds_read_b128 v[0:3], v4
	ds_read_b128 v[8:11], v5 offset:16
	s_waitcnt lgkmcnt(0)
	v_add_co_u32_e32 v0, vcc, v8, v0
	v_addc_co_u32_e32 v1, vcc, v9, v1, vcc
	v_addc_co_u32_e32 v2, vcc, v10, v2, vcc
	;; [unrolled: 1-line block ×3, first 2 shown]
.LBB62_24:                              ;   in Loop: Header=BB62_2 Depth=1
	s_or_b64 exec, exec, s[12:13]
	; wave barrier
	s_and_saveexec_b64 s[12:13], s[10:11]
	s_cbranch_execz .LBB62_1
; %bb.25:                               ;   in Loop: Header=BB62_2 Depth=1
	ds_write_b128 v4, v[0:3]
	s_branch .LBB62_1
.LBB62_26:
	v_mov_b32_e32 v5, s15
	v_add_co_u32_e32 v4, vcc, s14, v6
	v_addc_co_u32_e32 v5, vcc, v5, v7, vcc
	s_waitcnt lgkmcnt(0)
	global_store_dwordx4 v[4:5], v[0:3], off
	s_endpgm
	.section	.rodata,"a",@progbits
	.p2align	6, 0x0
	.amdhsa_kernel _Z18warp_reduce_kernelILb1EoLj61ELj100EEvPKT0_PS0_
		.amdhsa_group_segment_fixed_size 976
		.amdhsa_private_segment_fixed_size 0
		.amdhsa_kernarg_size 272
		.amdhsa_user_sgpr_count 6
		.amdhsa_user_sgpr_private_segment_buffer 1
		.amdhsa_user_sgpr_dispatch_ptr 0
		.amdhsa_user_sgpr_queue_ptr 0
		.amdhsa_user_sgpr_kernarg_segment_ptr 1
		.amdhsa_user_sgpr_dispatch_id 0
		.amdhsa_user_sgpr_flat_scratch_init 0
		.amdhsa_user_sgpr_kernarg_preload_length 0
		.amdhsa_user_sgpr_kernarg_preload_offset 0
		.amdhsa_user_sgpr_private_segment_size 0
		.amdhsa_uses_dynamic_stack 0
		.amdhsa_system_sgpr_private_segment_wavefront_offset 0
		.amdhsa_system_sgpr_workgroup_id_x 1
		.amdhsa_system_sgpr_workgroup_id_y 0
		.amdhsa_system_sgpr_workgroup_id_z 0
		.amdhsa_system_sgpr_workgroup_info 0
		.amdhsa_system_vgpr_workitem_id 0
		.amdhsa_next_free_vgpr 12
		.amdhsa_next_free_sgpr 17
		.amdhsa_accum_offset 12
		.amdhsa_reserve_vcc 1
		.amdhsa_reserve_flat_scratch 0
		.amdhsa_float_round_mode_32 0
		.amdhsa_float_round_mode_16_64 0
		.amdhsa_float_denorm_mode_32 3
		.amdhsa_float_denorm_mode_16_64 3
		.amdhsa_dx10_clamp 1
		.amdhsa_ieee_mode 1
		.amdhsa_fp16_overflow 0
		.amdhsa_tg_split 0
		.amdhsa_exception_fp_ieee_invalid_op 0
		.amdhsa_exception_fp_denorm_src 0
		.amdhsa_exception_fp_ieee_div_zero 0
		.amdhsa_exception_fp_ieee_overflow 0
		.amdhsa_exception_fp_ieee_underflow 0
		.amdhsa_exception_fp_ieee_inexact 0
		.amdhsa_exception_int_div_zero 0
	.end_amdhsa_kernel
	.section	.text._Z18warp_reduce_kernelILb1EoLj61ELj100EEvPKT0_PS0_,"axG",@progbits,_Z18warp_reduce_kernelILb1EoLj61ELj100EEvPKT0_PS0_,comdat
.Lfunc_end62:
	.size	_Z18warp_reduce_kernelILb1EoLj61ELj100EEvPKT0_PS0_, .Lfunc_end62-_Z18warp_reduce_kernelILb1EoLj61ELj100EEvPKT0_PS0_
                                        ; -- End function
	.section	.AMDGPU.csdata,"",@progbits
; Kernel info:
; codeLenInByte = 640
; NumSgprs: 21
; NumVgprs: 12
; NumAgprs: 0
; TotalNumVgprs: 12
; ScratchSize: 0
; MemoryBound: 0
; FloatMode: 240
; IeeeMode: 1
; LDSByteSize: 976 bytes/workgroup (compile time only)
; SGPRBlocks: 2
; VGPRBlocks: 1
; NumSGPRsForWavesPerEU: 21
; NumVGPRsForWavesPerEU: 12
; AccumOffset: 12
; Occupancy: 8
; WaveLimiterHint : 0
; COMPUTE_PGM_RSRC2:SCRATCH_EN: 0
; COMPUTE_PGM_RSRC2:USER_SGPR: 6
; COMPUTE_PGM_RSRC2:TRAP_HANDLER: 0
; COMPUTE_PGM_RSRC2:TGID_X_EN: 1
; COMPUTE_PGM_RSRC2:TGID_Y_EN: 0
; COMPUTE_PGM_RSRC2:TGID_Z_EN: 0
; COMPUTE_PGM_RSRC2:TIDIG_COMP_CNT: 0
; COMPUTE_PGM_RSRC3_GFX90A:ACCUM_OFFSET: 2
; COMPUTE_PGM_RSRC3_GFX90A:TG_SPLIT: 0
	.section	.text._Z18warp_reduce_kernelILb1EoLj64ELj100EEvPKT0_PS0_,"axG",@progbits,_Z18warp_reduce_kernelILb1EoLj64ELj100EEvPKT0_PS0_,comdat
	.protected	_Z18warp_reduce_kernelILb1EoLj64ELj100EEvPKT0_PS0_ ; -- Begin function _Z18warp_reduce_kernelILb1EoLj64ELj100EEvPKT0_PS0_
	.globl	_Z18warp_reduce_kernelILb1EoLj64ELj100EEvPKT0_PS0_
	.p2align	8
	.type	_Z18warp_reduce_kernelILb1EoLj64ELj100EEvPKT0_PS0_,@function
_Z18warp_reduce_kernelILb1EoLj64ELj100EEvPKT0_PS0_: ; @_Z18warp_reduce_kernelILb1EoLj64ELj100EEvPKT0_PS0_
; %bb.0:
	s_load_dword s7, s[4:5], 0x1c
	s_load_dwordx4 s[0:3], s[4:5], 0x0
	v_mov_b32_e32 v1, 0
	v_mbcnt_lo_u32_b32 v6, -1, 0
	v_mbcnt_hi_u32_b32 v6, -1, v6
	s_waitcnt lgkmcnt(0)
	s_and_b32 s4, s7, 0xffff
	s_mul_i32 s6, s6, s4
	v_add_u32_e32 v0, s6, v0
	v_lshlrev_b64 v[4:5], 4, v[0:1]
	v_mov_b32_e32 v1, s1
	v_add_co_u32_e32 v0, vcc, s0, v4
	v_addc_co_u32_e32 v1, vcc, v1, v5, vcc
	global_load_dwordx4 v[0:3], v[0:1], off
	v_bfrev_b32_e32 v7, 0.5
	v_lshl_or_b32 v6, v6, 2, v7
	s_movk_i32 s0, 0x64
.LBB63_1:                               ; =>This Inner Loop Header: Depth=1
	s_waitcnt vmcnt(0) lgkmcnt(3)
	v_mov_b32_dpp v7, v0 quad_perm:[1,0,3,2] row_mask:0xf bank_mask:0xf
	v_add_co_u32_e32 v0, vcc, v0, v7
	s_waitcnt lgkmcnt(2)
	v_mov_b32_dpp v8, v1 quad_perm:[1,0,3,2] row_mask:0xf bank_mask:0xf
	v_addc_co_u32_e32 v1, vcc, 0, v1, vcc
	s_waitcnt lgkmcnt(1)
	v_mov_b32_dpp v9, v2 quad_perm:[1,0,3,2] row_mask:0xf bank_mask:0xf
	v_addc_co_u32_e32 v2, vcc, 0, v2, vcc
	;; [unrolled: 3-line block ×3, first 2 shown]
	v_add_co_u32_e32 v7, vcc, 0, v0
	v_addc_co_u32_e32 v1, vcc, v8, v1, vcc
	v_addc_co_u32_e32 v2, vcc, 0, v2, vcc
	;; [unrolled: 1-line block ×3, first 2 shown]
	v_add_co_u32_e32 v2, vcc, v2, v9
	v_addc_co_u32_e32 v3, vcc, 0, v3, vcc
	v_add_co_u32_e32 v8, vcc, 0, v2
	v_addc_co_u32_e32 v3, vcc, v3, v10, vcc
	v_mov_b32_dpp v0, v0 quad_perm:[2,3,0,1] row_mask:0xf bank_mask:0xf
	v_add_co_u32_e32 v0, vcc, v7, v0
	v_mov_b32_dpp v9, v1 quad_perm:[2,3,0,1] row_mask:0xf bank_mask:0xf
	v_addc_co_u32_e32 v1, vcc, 0, v1, vcc
	v_addc_co_u32_e32 v7, vcc, 0, v8, vcc
	v_mov_b32_dpp v10, v3 quad_perm:[2,3,0,1] row_mask:0xf bank_mask:0xf
	v_addc_co_u32_e32 v3, vcc, 0, v3, vcc
	v_add_co_u32_e32 v8, vcc, 0, v0
	v_addc_co_u32_e32 v1, vcc, v1, v9, vcc
	v_addc_co_u32_e32 v7, vcc, 0, v7, vcc
	v_mov_b32_dpp v2, v2 quad_perm:[2,3,0,1] row_mask:0xf bank_mask:0xf
	v_addc_co_u32_e32 v3, vcc, 0, v3, vcc
	v_add_co_u32_e32 v2, vcc, v7, v2
	v_addc_co_u32_e32 v3, vcc, 0, v3, vcc
	v_add_co_u32_e32 v7, vcc, 0, v2
	v_addc_co_u32_e32 v3, vcc, v3, v10, vcc
	v_mov_b32_dpp v0, v0 row_ror:4 row_mask:0xf bank_mask:0xf
	v_add_co_u32_e32 v0, vcc, v8, v0
	v_mov_b32_dpp v9, v1 row_ror:4 row_mask:0xf bank_mask:0xf
	v_addc_co_u32_e32 v1, vcc, 0, v1, vcc
	v_addc_co_u32_e32 v7, vcc, 0, v7, vcc
	v_mov_b32_dpp v10, v3 row_ror:4 row_mask:0xf bank_mask:0xf
	v_addc_co_u32_e32 v3, vcc, 0, v3, vcc
	v_add_co_u32_e32 v8, vcc, 0, v0
	v_addc_co_u32_e32 v1, vcc, v1, v9, vcc
	v_addc_co_u32_e32 v7, vcc, 0, v7, vcc
	v_mov_b32_dpp v2, v2 row_ror:4 row_mask:0xf bank_mask:0xf
	v_addc_co_u32_e32 v3, vcc, 0, v3, vcc
	v_add_co_u32_e32 v2, vcc, v7, v2
	v_addc_co_u32_e32 v3, vcc, 0, v3, vcc
	v_add_co_u32_e32 v7, vcc, 0, v2
	v_addc_co_u32_e32 v3, vcc, v3, v10, vcc
	v_mov_b32_dpp v0, v0 row_ror:8 row_mask:0xf bank_mask:0xf
	v_add_co_u32_e32 v0, vcc, v8, v0
	v_mov_b32_dpp v9, v1 row_ror:8 row_mask:0xf bank_mask:0xf
	v_addc_co_u32_e32 v1, vcc, 0, v1, vcc
	v_addc_co_u32_e32 v7, vcc, 0, v7, vcc
	v_mov_b32_dpp v10, v3 row_ror:8 row_mask:0xf bank_mask:0xf
	v_addc_co_u32_e32 v3, vcc, 0, v3, vcc
	v_add_co_u32_e32 v8, vcc, 0, v0
	v_addc_co_u32_e32 v1, vcc, v1, v9, vcc
	v_addc_co_u32_e32 v7, vcc, 0, v7, vcc
	v_mov_b32_dpp v2, v2 row_ror:8 row_mask:0xf bank_mask:0xf
	v_addc_co_u32_e32 v3, vcc, 0, v3, vcc
	v_add_co_u32_e32 v2, vcc, v7, v2
	v_addc_co_u32_e32 v3, vcc, 0, v3, vcc
	v_add_co_u32_e32 v7, vcc, 0, v2
	v_addc_co_u32_e32 v3, vcc, v3, v10, vcc
	v_mov_b32_dpp v0, v0 row_bcast:15 row_mask:0xf bank_mask:0xf
	v_mov_b32_dpp v9, v1 row_bcast:15 row_mask:0xf bank_mask:0xf
	v_add_co_u32_e32 v0, vcc, v0, v8
	v_addc_co_u32_e32 v1, vcc, v9, v1, vcc
	v_addc_co_u32_e32 v7, vcc, 0, v7, vcc
	v_mov_b32_dpp v2, v2 row_bcast:15 row_mask:0xf bank_mask:0xf
	v_mov_b32_dpp v10, v3 row_bcast:15 row_mask:0xf bank_mask:0xf
	v_addc_co_u32_e32 v3, vcc, 0, v3, vcc
	v_add_co_u32_e32 v2, vcc, v7, v2
	v_addc_co_u32_e32 v3, vcc, 0, v3, vcc
	v_add_co_u32_e32 v7, vcc, 0, v2
	v_addc_co_u32_e32 v3, vcc, v3, v10, vcc
	v_mov_b32_dpp v8, v0 row_bcast:31 row_mask:0xf bank_mask:0xf
	v_mov_b32_dpp v9, v1 row_bcast:31 row_mask:0xf bank_mask:0xf
	v_add_co_u32_e32 v0, vcc, v8, v0
	v_addc_co_u32_e32 v1, vcc, v9, v1, vcc
	v_addc_co_u32_e32 v7, vcc, 0, v7, vcc
	v_mov_b32_dpp v2, v2 row_bcast:31 row_mask:0xf bank_mask:0xf
	v_mov_b32_dpp v10, v3 row_bcast:31 row_mask:0xf bank_mask:0xf
	v_addc_co_u32_e32 v3, vcc, 0, v3, vcc
	v_add_co_u32_e32 v2, vcc, v7, v2
	v_addc_co_u32_e32 v3, vcc, 0, v3, vcc
	v_add_u32_e32 v3, v10, v3
	ds_bpermute_b32 v0, v6, v0
	ds_bpermute_b32 v1, v6, v1
	ds_bpermute_b32 v2, v6, v2
	ds_bpermute_b32 v3, v6, v3
	s_add_i32 s0, s0, -1
	s_cmp_eq_u32 s0, 0
	s_cbranch_scc0 .LBB63_1
; %bb.2:
	v_mov_b32_e32 v6, s3
	v_add_co_u32_e32 v4, vcc, s2, v4
	v_addc_co_u32_e32 v5, vcc, v6, v5, vcc
	s_waitcnt lgkmcnt(0)
	global_store_dwordx4 v[4:5], v[0:3], off
	s_endpgm
	.section	.rodata,"a",@progbits
	.p2align	6, 0x0
	.amdhsa_kernel _Z18warp_reduce_kernelILb1EoLj64ELj100EEvPKT0_PS0_
		.amdhsa_group_segment_fixed_size 0
		.amdhsa_private_segment_fixed_size 0
		.amdhsa_kernarg_size 272
		.amdhsa_user_sgpr_count 6
		.amdhsa_user_sgpr_private_segment_buffer 1
		.amdhsa_user_sgpr_dispatch_ptr 0
		.amdhsa_user_sgpr_queue_ptr 0
		.amdhsa_user_sgpr_kernarg_segment_ptr 1
		.amdhsa_user_sgpr_dispatch_id 0
		.amdhsa_user_sgpr_flat_scratch_init 0
		.amdhsa_user_sgpr_kernarg_preload_length 0
		.amdhsa_user_sgpr_kernarg_preload_offset 0
		.amdhsa_user_sgpr_private_segment_size 0
		.amdhsa_uses_dynamic_stack 0
		.amdhsa_system_sgpr_private_segment_wavefront_offset 0
		.amdhsa_system_sgpr_workgroup_id_x 1
		.amdhsa_system_sgpr_workgroup_id_y 0
		.amdhsa_system_sgpr_workgroup_id_z 0
		.amdhsa_system_sgpr_workgroup_info 0
		.amdhsa_system_vgpr_workitem_id 0
		.amdhsa_next_free_vgpr 11
		.amdhsa_next_free_sgpr 8
		.amdhsa_accum_offset 12
		.amdhsa_reserve_vcc 1
		.amdhsa_reserve_flat_scratch 0
		.amdhsa_float_round_mode_32 0
		.amdhsa_float_round_mode_16_64 0
		.amdhsa_float_denorm_mode_32 3
		.amdhsa_float_denorm_mode_16_64 3
		.amdhsa_dx10_clamp 1
		.amdhsa_ieee_mode 1
		.amdhsa_fp16_overflow 0
		.amdhsa_tg_split 0
		.amdhsa_exception_fp_ieee_invalid_op 0
		.amdhsa_exception_fp_denorm_src 0
		.amdhsa_exception_fp_ieee_div_zero 0
		.amdhsa_exception_fp_ieee_overflow 0
		.amdhsa_exception_fp_ieee_underflow 0
		.amdhsa_exception_fp_ieee_inexact 0
		.amdhsa_exception_int_div_zero 0
	.end_amdhsa_kernel
	.section	.text._Z18warp_reduce_kernelILb1EoLj64ELj100EEvPKT0_PS0_,"axG",@progbits,_Z18warp_reduce_kernelILb1EoLj64ELj100EEvPKT0_PS0_,comdat
.Lfunc_end63:
	.size	_Z18warp_reduce_kernelILb1EoLj64ELj100EEvPKT0_PS0_, .Lfunc_end63-_Z18warp_reduce_kernelILb1EoLj64ELj100EEvPKT0_PS0_
                                        ; -- End function
	.section	.AMDGPU.csdata,"",@progbits
; Kernel info:
; codeLenInByte = 632
; NumSgprs: 12
; NumVgprs: 11
; NumAgprs: 0
; TotalNumVgprs: 11
; ScratchSize: 0
; MemoryBound: 0
; FloatMode: 240
; IeeeMode: 1
; LDSByteSize: 0 bytes/workgroup (compile time only)
; SGPRBlocks: 1
; VGPRBlocks: 1
; NumSGPRsForWavesPerEU: 12
; NumVGPRsForWavesPerEU: 11
; AccumOffset: 12
; Occupancy: 8
; WaveLimiterHint : 0
; COMPUTE_PGM_RSRC2:SCRATCH_EN: 0
; COMPUTE_PGM_RSRC2:USER_SGPR: 6
; COMPUTE_PGM_RSRC2:TRAP_HANDLER: 0
; COMPUTE_PGM_RSRC2:TGID_X_EN: 1
; COMPUTE_PGM_RSRC2:TGID_Y_EN: 0
; COMPUTE_PGM_RSRC2:TGID_Z_EN: 0
; COMPUTE_PGM_RSRC2:TIDIG_COMP_CNT: 0
; COMPUTE_PGM_RSRC3_GFX90A:ACCUM_OFFSET: 2
; COMPUTE_PGM_RSRC3_GFX90A:TG_SPLIT: 0
	.section	.text._Z28segmented_warp_reduce_kernelIihLj32ELj100EEvPKT_PT0_PS0_,"axG",@progbits,_Z28segmented_warp_reduce_kernelIihLj32ELj100EEvPKT_PT0_PS0_,comdat
	.protected	_Z28segmented_warp_reduce_kernelIihLj32ELj100EEvPKT_PT0_PS0_ ; -- Begin function _Z28segmented_warp_reduce_kernelIihLj32ELj100EEvPKT_PT0_PS0_
	.globl	_Z28segmented_warp_reduce_kernelIihLj32ELj100EEvPKT_PT0_PS0_
	.p2align	8
	.type	_Z28segmented_warp_reduce_kernelIihLj32ELj100EEvPKT_PT0_PS0_,@function
_Z28segmented_warp_reduce_kernelIihLj32ELj100EEvPKT_PT0_PS0_: ; @_Z28segmented_warp_reduce_kernelIihLj32ELj100EEvPKT_PT0_PS0_
; %bb.0:
	s_load_dword s7, s[4:5], 0x24
	s_load_dwordx4 s[0:3], s[4:5], 0x0
	s_load_dwordx2 s[8:9], s[4:5], 0x10
	v_mov_b32_e32 v1, 0
	s_movk_i32 s10, 0x64
	s_waitcnt lgkmcnt(0)
	s_and_b32 s4, s7, 0xffff
	s_mul_i32 s6, s6, s4
	v_add_u32_e32 v0, s6, v0
	global_load_ubyte v11, v0, s[2:3]
	v_lshlrev_b64 v[0:1], 2, v[0:1]
	v_mov_b32_e32 v3, s1
	v_add_co_u32_e32 v2, vcc, s0, v0
	v_addc_co_u32_e32 v3, vcc, v3, v1, vcc
	global_load_dword v2, v[2:3], off
	v_mbcnt_lo_u32_b32 v3, -1, 0
	v_mbcnt_hi_u32_b32 v7, -1, v3
	v_and_b32_e32 v12, 31, v7
	v_cmp_ne_u32_e32 vcc, 31, v12
	v_addc_co_u32_e32 v3, vcc, 0, v7, vcc
	v_cmp_gt_u32_e32 vcc, 30, v12
	v_cndmask_b32_e64 v4, 0, 1, vcc
	v_cmp_gt_u32_e32 vcc, 28, v12
	v_cndmask_b32_e64 v5, 0, 1, vcc
	;; [unrolled: 2-line block ×4, first 2 shown]
	v_lshlrev_b64 v[8:9], v7, -1
	v_and_b32_e32 v10, 0x60, v7
	v_add_u32_e32 v13, 2, v12
	v_add_u32_e32 v14, 4, v12
	;; [unrolled: 1-line block ×4, first 2 shown]
	v_lshlrev_b32_e32 v4, 1, v4
	v_lshlrev_b32_e32 v5, 2, v5
	;; [unrolled: 1-line block ×5, first 2 shown]
	v_add_lshl_u32 v4, v4, v7, 2
	v_add_lshl_u32 v5, v5, v7, 2
	;; [unrolled: 1-line block ×4, first 2 shown]
	s_waitcnt vmcnt(1)
	v_cmp_ne_u16_e32 vcc, 0, v11
	v_cndmask_b32_e64 v11, 0, 1, vcc
	v_cmp_ne_u32_e32 vcc, 0, v11
	s_lshr_b64 s[0:1], vcc, 1
	v_and_b32_e32 v9, s1, v9
	v_and_b32_e32 v8, s0, v8
	v_lshrrev_b64 v[8:9], v10, v[8:9]
	v_or_b32_e32 v8, 0x80000000, v8
	v_ffbl_b32_e32 v9, v9
	v_add_u32_e32 v9, 32, v9
	v_ffbl_b32_e32 v8, v8
	v_min_u32_e32 v8, v8, v9
	v_cmp_lt_u32_e32 vcc, v12, v8
	v_cmp_le_u32_e64 s[0:1], v13, v8
	v_cmp_le_u32_e64 s[2:3], v14, v8
	;; [unrolled: 1-line block ×4, first 2 shown]
.LBB64_1:                               ; =>This Inner Loop Header: Depth=1
	s_waitcnt vmcnt(0)
	ds_bpermute_b32 v8, v3, v2
	s_add_i32 s10, s10, -1
	s_cmp_eq_u32 s10, 0
	s_waitcnt lgkmcnt(0)
	v_cndmask_b32_e32 v8, 0, v8, vcc
	v_add_u32_e32 v2, v8, v2
	ds_bpermute_b32 v8, v4, v2
	s_waitcnt lgkmcnt(0)
	v_cndmask_b32_e64 v8, 0, v8, s[0:1]
	v_add_u32_e32 v2, v2, v8
	ds_bpermute_b32 v8, v5, v2
	s_waitcnt lgkmcnt(0)
	v_cndmask_b32_e64 v8, 0, v8, s[2:3]
	;; [unrolled: 4-line block ×4, first 2 shown]
	v_add_u32_e32 v2, v2, v8
	s_cbranch_scc0 .LBB64_1
; %bb.2:
	v_mov_b32_e32 v3, s9
	v_add_co_u32_e32 v0, vcc, s8, v0
	v_addc_co_u32_e32 v1, vcc, v3, v1, vcc
	global_store_dword v[0:1], v2, off
	s_endpgm
	.section	.rodata,"a",@progbits
	.p2align	6, 0x0
	.amdhsa_kernel _Z28segmented_warp_reduce_kernelIihLj32ELj100EEvPKT_PT0_PS0_
		.amdhsa_group_segment_fixed_size 0
		.amdhsa_private_segment_fixed_size 0
		.amdhsa_kernarg_size 280
		.amdhsa_user_sgpr_count 6
		.amdhsa_user_sgpr_private_segment_buffer 1
		.amdhsa_user_sgpr_dispatch_ptr 0
		.amdhsa_user_sgpr_queue_ptr 0
		.amdhsa_user_sgpr_kernarg_segment_ptr 1
		.amdhsa_user_sgpr_dispatch_id 0
		.amdhsa_user_sgpr_flat_scratch_init 0
		.amdhsa_user_sgpr_kernarg_preload_length 0
		.amdhsa_user_sgpr_kernarg_preload_offset 0
		.amdhsa_user_sgpr_private_segment_size 0
		.amdhsa_uses_dynamic_stack 0
		.amdhsa_system_sgpr_private_segment_wavefront_offset 0
		.amdhsa_system_sgpr_workgroup_id_x 1
		.amdhsa_system_sgpr_workgroup_id_y 0
		.amdhsa_system_sgpr_workgroup_id_z 0
		.amdhsa_system_sgpr_workgroup_info 0
		.amdhsa_system_vgpr_workitem_id 0
		.amdhsa_next_free_vgpr 18
		.amdhsa_next_free_sgpr 11
		.amdhsa_accum_offset 20
		.amdhsa_reserve_vcc 1
		.amdhsa_reserve_flat_scratch 0
		.amdhsa_float_round_mode_32 0
		.amdhsa_float_round_mode_16_64 0
		.amdhsa_float_denorm_mode_32 3
		.amdhsa_float_denorm_mode_16_64 3
		.amdhsa_dx10_clamp 1
		.amdhsa_ieee_mode 1
		.amdhsa_fp16_overflow 0
		.amdhsa_tg_split 0
		.amdhsa_exception_fp_ieee_invalid_op 0
		.amdhsa_exception_fp_denorm_src 0
		.amdhsa_exception_fp_ieee_div_zero 0
		.amdhsa_exception_fp_ieee_overflow 0
		.amdhsa_exception_fp_ieee_underflow 0
		.amdhsa_exception_fp_ieee_inexact 0
		.amdhsa_exception_int_div_zero 0
	.end_amdhsa_kernel
	.section	.text._Z28segmented_warp_reduce_kernelIihLj32ELj100EEvPKT_PT0_PS0_,"axG",@progbits,_Z28segmented_warp_reduce_kernelIihLj32ELj100EEvPKT_PT0_PS0_,comdat
.Lfunc_end64:
	.size	_Z28segmented_warp_reduce_kernelIihLj32ELj100EEvPKT_PT0_PS0_, .Lfunc_end64-_Z28segmented_warp_reduce_kernelIihLj32ELj100EEvPKT_PT0_PS0_
                                        ; -- End function
	.section	.AMDGPU.csdata,"",@progbits
; Kernel info:
; codeLenInByte = 504
; NumSgprs: 15
; NumVgprs: 18
; NumAgprs: 0
; TotalNumVgprs: 18
; ScratchSize: 0
; MemoryBound: 0
; FloatMode: 240
; IeeeMode: 1
; LDSByteSize: 0 bytes/workgroup (compile time only)
; SGPRBlocks: 1
; VGPRBlocks: 2
; NumSGPRsForWavesPerEU: 15
; NumVGPRsForWavesPerEU: 18
; AccumOffset: 20
; Occupancy: 8
; WaveLimiterHint : 0
; COMPUTE_PGM_RSRC2:SCRATCH_EN: 0
; COMPUTE_PGM_RSRC2:USER_SGPR: 6
; COMPUTE_PGM_RSRC2:TRAP_HANDLER: 0
; COMPUTE_PGM_RSRC2:TGID_X_EN: 1
; COMPUTE_PGM_RSRC2:TGID_Y_EN: 0
; COMPUTE_PGM_RSRC2:TGID_Z_EN: 0
; COMPUTE_PGM_RSRC2:TIDIG_COMP_CNT: 0
; COMPUTE_PGM_RSRC3_GFX90A:ACCUM_OFFSET: 4
; COMPUTE_PGM_RSRC3_GFX90A:TG_SPLIT: 0
	.section	.text._Z28segmented_warp_reduce_kernelIihLj37ELj100EEvPKT_PT0_PS0_,"axG",@progbits,_Z28segmented_warp_reduce_kernelIihLj37ELj100EEvPKT_PT0_PS0_,comdat
	.protected	_Z28segmented_warp_reduce_kernelIihLj37ELj100EEvPKT_PT0_PS0_ ; -- Begin function _Z28segmented_warp_reduce_kernelIihLj37ELj100EEvPKT_PT0_PS0_
	.globl	_Z28segmented_warp_reduce_kernelIihLj37ELj100EEvPKT_PT0_PS0_
	.p2align	8
	.type	_Z28segmented_warp_reduce_kernelIihLj37ELj100EEvPKT_PT0_PS0_,@function
_Z28segmented_warp_reduce_kernelIihLj37ELj100EEvPKT_PT0_PS0_: ; @_Z28segmented_warp_reduce_kernelIihLj37ELj100EEvPKT_PT0_PS0_
; %bb.0:
	s_load_dword s2, s[4:5], 0x24
	s_load_dwordx4 s[8:11], s[4:5], 0x0
	s_load_dwordx2 s[0:1], s[4:5], 0x10
	v_mov_b32_e32 v3, 0
	s_movk_i32 s4, 0x64
	s_waitcnt lgkmcnt(0)
	s_and_b32 s2, s2, 0xffff
	s_mul_i32 s6, s6, s2
	v_add_u32_e32 v2, s6, v0
	v_lshlrev_b64 v[0:1], 2, v[2:3]
	v_mov_b32_e32 v3, s9
	global_load_ubyte v13, v2, s[10:11]
	v_add_co_u32_e32 v2, vcc, s8, v0
	v_addc_co_u32_e32 v3, vcc, v3, v1, vcc
	global_load_dword v3, v[2:3], off
	v_mbcnt_lo_u32_b32 v2, -1, 0
	v_mbcnt_hi_u32_b32 v4, -1, v2
	s_mov_b32 s2, 0x6eb3e46
	v_mul_hi_u32 v2, v4, s2
	v_mul_u32_u24_e32 v2, 37, v2
	v_sub_u32_e32 v6, v4, v2
	v_lshlrev_b64 v[4:5], v4, -1
	v_lshlrev_b32_e32 v7, 2, v6
	v_add_u32_e32 v8, 2, v6
	v_add_u32_e32 v9, 4, v6
	;; [unrolled: 1-line block ×5, first 2 shown]
	s_waitcnt vmcnt(1)
	v_cmp_ne_u16_e32 vcc, 0, v13
	v_cndmask_b32_e64 v13, 0, 1, vcc
	s_branch .LBB65_2
.LBB65_1:                               ;   in Loop: Header=BB65_2 Depth=1
	s_or_b64 exec, exec, s[2:3]
	s_add_i32 s4, s4, -1
	s_cmp_eq_u32 s4, 0
	; wave barrier
	s_cbranch_scc1 .LBB65_14
.LBB65_2:                               ; =>This Inner Loop Header: Depth=1
	v_cmp_ne_u32_e32 vcc, 0, v13
	s_lshr_b64 s[2:3], vcc, 1
	v_and_b32_e32 v15, s3, v5
	v_and_b32_e32 v14, s2, v4
	v_lshrrev_b64 v[14:15], v2, v[14:15]
	v_or_b32_e32 v15, 16, v15
	v_ffbl_b32_e32 v15, v15
	v_add_u32_e32 v15, 32, v15
	v_ffbl_b32_e32 v14, v14
	v_min_u32_e32 v14, v14, v15
	v_cmp_lt_u32_e32 vcc, v6, v14
	s_waitcnt vmcnt(0)
	ds_write_b32 v7, v3
	; wave barrier
	s_and_saveexec_b64 s[2:3], vcc
	s_cbranch_execz .LBB65_4
; %bb.3:                                ;   in Loop: Header=BB65_2 Depth=1
	ds_read_b32 v15, v7 offset:4
	s_waitcnt lgkmcnt(0)
	v_add_u32_e32 v3, v15, v3
.LBB65_4:                               ;   in Loop: Header=BB65_2 Depth=1
	s_or_b64 exec, exec, s[2:3]
	v_cmp_le_u32_e32 vcc, v8, v14
	; wave barrier
	ds_write_b32 v7, v3
	; wave barrier
	s_and_saveexec_b64 s[2:3], vcc
	s_cbranch_execz .LBB65_6
; %bb.5:                                ;   in Loop: Header=BB65_2 Depth=1
	ds_read_b32 v15, v7 offset:8
	s_waitcnt lgkmcnt(0)
	v_add_u32_e32 v3, v15, v3
.LBB65_6:                               ;   in Loop: Header=BB65_2 Depth=1
	s_or_b64 exec, exec, s[2:3]
	v_cmp_le_u32_e32 vcc, v9, v14
	; wave barrier
	;; [unrolled: 12-line block ×3, first 2 shown]
	ds_write_b32 v7, v3
	; wave barrier
	s_and_saveexec_b64 s[2:3], vcc
	s_cbranch_execz .LBB65_10
; %bb.9:                                ;   in Loop: Header=BB65_2 Depth=1
	ds_read_b32 v15, v7 offset:32
	s_waitcnt lgkmcnt(0)
	v_add_u32_e32 v3, v15, v3
.LBB65_10:                              ;   in Loop: Header=BB65_2 Depth=1
	s_or_b64 exec, exec, s[2:3]
	v_cmp_le_u32_e32 vcc, v11, v14
	; wave barrier
	ds_write_b32 v7, v3
	; wave barrier
	s_and_saveexec_b64 s[2:3], vcc
	s_cbranch_execz .LBB65_12
; %bb.11:                               ;   in Loop: Header=BB65_2 Depth=1
	ds_read_b32 v15, v7 offset:64
	s_waitcnt lgkmcnt(0)
	v_add_u32_e32 v3, v15, v3
.LBB65_12:                              ;   in Loop: Header=BB65_2 Depth=1
	s_or_b64 exec, exec, s[2:3]
	v_cmp_le_u32_e32 vcc, v12, v14
	; wave barrier
	ds_write_b32 v7, v3
	; wave barrier
	s_and_saveexec_b64 s[2:3], vcc
	s_cbranch_execz .LBB65_1
; %bb.13:                               ;   in Loop: Header=BB65_2 Depth=1
	ds_read_b32 v14, v7 offset:128
	s_waitcnt lgkmcnt(0)
	v_add_u32_e32 v3, v14, v3
	s_branch .LBB65_1
.LBB65_14:
	v_mov_b32_e32 v2, s1
	v_add_co_u32_e32 v0, vcc, s0, v0
	v_addc_co_u32_e32 v1, vcc, v2, v1, vcc
	global_store_dword v[0:1], v3, off
	s_endpgm
	.section	.rodata,"a",@progbits
	.p2align	6, 0x0
	.amdhsa_kernel _Z28segmented_warp_reduce_kernelIihLj37ELj100EEvPKT_PT0_PS0_
		.amdhsa_group_segment_fixed_size 148
		.amdhsa_private_segment_fixed_size 0
		.amdhsa_kernarg_size 280
		.amdhsa_user_sgpr_count 6
		.amdhsa_user_sgpr_private_segment_buffer 1
		.amdhsa_user_sgpr_dispatch_ptr 0
		.amdhsa_user_sgpr_queue_ptr 0
		.amdhsa_user_sgpr_kernarg_segment_ptr 1
		.amdhsa_user_sgpr_dispatch_id 0
		.amdhsa_user_sgpr_flat_scratch_init 0
		.amdhsa_user_sgpr_kernarg_preload_length 0
		.amdhsa_user_sgpr_kernarg_preload_offset 0
		.amdhsa_user_sgpr_private_segment_size 0
		.amdhsa_uses_dynamic_stack 0
		.amdhsa_system_sgpr_private_segment_wavefront_offset 0
		.amdhsa_system_sgpr_workgroup_id_x 1
		.amdhsa_system_sgpr_workgroup_id_y 0
		.amdhsa_system_sgpr_workgroup_id_z 0
		.amdhsa_system_sgpr_workgroup_info 0
		.amdhsa_system_vgpr_workitem_id 0
		.amdhsa_next_free_vgpr 16
		.amdhsa_next_free_sgpr 12
		.amdhsa_accum_offset 16
		.amdhsa_reserve_vcc 1
		.amdhsa_reserve_flat_scratch 0
		.amdhsa_float_round_mode_32 0
		.amdhsa_float_round_mode_16_64 0
		.amdhsa_float_denorm_mode_32 3
		.amdhsa_float_denorm_mode_16_64 3
		.amdhsa_dx10_clamp 1
		.amdhsa_ieee_mode 1
		.amdhsa_fp16_overflow 0
		.amdhsa_tg_split 0
		.amdhsa_exception_fp_ieee_invalid_op 0
		.amdhsa_exception_fp_denorm_src 0
		.amdhsa_exception_fp_ieee_div_zero 0
		.amdhsa_exception_fp_ieee_overflow 0
		.amdhsa_exception_fp_ieee_underflow 0
		.amdhsa_exception_fp_ieee_inexact 0
		.amdhsa_exception_int_div_zero 0
	.end_amdhsa_kernel
	.section	.text._Z28segmented_warp_reduce_kernelIihLj37ELj100EEvPKT_PT0_PS0_,"axG",@progbits,_Z28segmented_warp_reduce_kernelIihLj37ELj100EEvPKT_PT0_PS0_,comdat
.Lfunc_end65:
	.size	_Z28segmented_warp_reduce_kernelIihLj37ELj100EEvPKT_PT0_PS0_, .Lfunc_end65-_Z28segmented_warp_reduce_kernelIihLj37ELj100EEvPKT_PT0_PS0_
                                        ; -- End function
	.section	.AMDGPU.csdata,"",@progbits
; Kernel info:
; codeLenInByte = 508
; NumSgprs: 16
; NumVgprs: 16
; NumAgprs: 0
; TotalNumVgprs: 16
; ScratchSize: 0
; MemoryBound: 0
; FloatMode: 240
; IeeeMode: 1
; LDSByteSize: 148 bytes/workgroup (compile time only)
; SGPRBlocks: 1
; VGPRBlocks: 1
; NumSGPRsForWavesPerEU: 16
; NumVGPRsForWavesPerEU: 16
; AccumOffset: 16
; Occupancy: 8
; WaveLimiterHint : 0
; COMPUTE_PGM_RSRC2:SCRATCH_EN: 0
; COMPUTE_PGM_RSRC2:USER_SGPR: 6
; COMPUTE_PGM_RSRC2:TRAP_HANDLER: 0
; COMPUTE_PGM_RSRC2:TGID_X_EN: 1
; COMPUTE_PGM_RSRC2:TGID_Y_EN: 0
; COMPUTE_PGM_RSRC2:TGID_Z_EN: 0
; COMPUTE_PGM_RSRC2:TIDIG_COMP_CNT: 0
; COMPUTE_PGM_RSRC3_GFX90A:ACCUM_OFFSET: 3
; COMPUTE_PGM_RSRC3_GFX90A:TG_SPLIT: 0
	.section	.text._Z28segmented_warp_reduce_kernelIihLj61ELj100EEvPKT_PT0_PS0_,"axG",@progbits,_Z28segmented_warp_reduce_kernelIihLj61ELj100EEvPKT_PT0_PS0_,comdat
	.protected	_Z28segmented_warp_reduce_kernelIihLj61ELj100EEvPKT_PT0_PS0_ ; -- Begin function _Z28segmented_warp_reduce_kernelIihLj61ELj100EEvPKT_PT0_PS0_
	.globl	_Z28segmented_warp_reduce_kernelIihLj61ELj100EEvPKT_PT0_PS0_
	.p2align	8
	.type	_Z28segmented_warp_reduce_kernelIihLj61ELj100EEvPKT_PT0_PS0_,@function
_Z28segmented_warp_reduce_kernelIihLj61ELj100EEvPKT_PT0_PS0_: ; @_Z28segmented_warp_reduce_kernelIihLj61ELj100EEvPKT_PT0_PS0_
; %bb.0:
	s_load_dword s2, s[4:5], 0x24
	s_load_dwordx4 s[8:11], s[4:5], 0x0
	s_load_dwordx2 s[0:1], s[4:5], 0x10
	v_mov_b32_e32 v3, 0
	s_movk_i32 s4, 0x64
	s_waitcnt lgkmcnt(0)
	s_and_b32 s2, s2, 0xffff
	s_mul_i32 s6, s6, s2
	v_add_u32_e32 v2, s6, v0
	v_lshlrev_b64 v[0:1], 2, v[2:3]
	v_mov_b32_e32 v3, s9
	global_load_ubyte v13, v2, s[10:11]
	v_add_co_u32_e32 v2, vcc, s8, v0
	v_addc_co_u32_e32 v3, vcc, v3, v1, vcc
	global_load_dword v3, v[2:3], off
	v_mbcnt_lo_u32_b32 v2, -1, 0
	v_mbcnt_hi_u32_b32 v4, -1, v2
	s_mov_b32 s2, 0x4325c54
	v_mul_hi_u32 v2, v4, s2
	v_mul_u32_u24_e32 v2, 61, v2
	v_sub_u32_e32 v6, v4, v2
	v_lshlrev_b64 v[4:5], v4, -1
	v_lshlrev_b32_e32 v7, 2, v6
	v_add_u32_e32 v8, 2, v6
	v_add_u32_e32 v9, 4, v6
	;; [unrolled: 1-line block ×5, first 2 shown]
	s_waitcnt vmcnt(1)
	v_cmp_ne_u16_e32 vcc, 0, v13
	v_cndmask_b32_e64 v13, 0, 1, vcc
	s_branch .LBB66_2
.LBB66_1:                               ;   in Loop: Header=BB66_2 Depth=1
	s_or_b64 exec, exec, s[2:3]
	s_add_i32 s4, s4, -1
	s_cmp_eq_u32 s4, 0
	; wave barrier
	s_cbranch_scc1 .LBB66_14
.LBB66_2:                               ; =>This Inner Loop Header: Depth=1
	v_cmp_ne_u32_e32 vcc, 0, v13
	s_lshr_b64 s[2:3], vcc, 1
	v_and_b32_e32 v15, s3, v5
	v_and_b32_e32 v14, s2, v4
	v_lshrrev_b64 v[14:15], v2, v[14:15]
	v_or_b32_e32 v15, 0x10000000, v15
	v_ffbl_b32_e32 v15, v15
	v_add_u32_e32 v15, 32, v15
	v_ffbl_b32_e32 v14, v14
	v_min_u32_e32 v14, v14, v15
	v_cmp_lt_u32_e32 vcc, v6, v14
	s_waitcnt vmcnt(0)
	ds_write_b32 v7, v3
	; wave barrier
	s_and_saveexec_b64 s[2:3], vcc
	s_cbranch_execz .LBB66_4
; %bb.3:                                ;   in Loop: Header=BB66_2 Depth=1
	ds_read_b32 v15, v7 offset:4
	s_waitcnt lgkmcnt(0)
	v_add_u32_e32 v3, v15, v3
.LBB66_4:                               ;   in Loop: Header=BB66_2 Depth=1
	s_or_b64 exec, exec, s[2:3]
	v_cmp_le_u32_e32 vcc, v8, v14
	; wave barrier
	ds_write_b32 v7, v3
	; wave barrier
	s_and_saveexec_b64 s[2:3], vcc
	s_cbranch_execz .LBB66_6
; %bb.5:                                ;   in Loop: Header=BB66_2 Depth=1
	ds_read_b32 v15, v7 offset:8
	s_waitcnt lgkmcnt(0)
	v_add_u32_e32 v3, v15, v3
.LBB66_6:                               ;   in Loop: Header=BB66_2 Depth=1
	s_or_b64 exec, exec, s[2:3]
	v_cmp_le_u32_e32 vcc, v9, v14
	; wave barrier
	;; [unrolled: 12-line block ×3, first 2 shown]
	ds_write_b32 v7, v3
	; wave barrier
	s_and_saveexec_b64 s[2:3], vcc
	s_cbranch_execz .LBB66_10
; %bb.9:                                ;   in Loop: Header=BB66_2 Depth=1
	ds_read_b32 v15, v7 offset:32
	s_waitcnt lgkmcnt(0)
	v_add_u32_e32 v3, v15, v3
.LBB66_10:                              ;   in Loop: Header=BB66_2 Depth=1
	s_or_b64 exec, exec, s[2:3]
	v_cmp_le_u32_e32 vcc, v11, v14
	; wave barrier
	ds_write_b32 v7, v3
	; wave barrier
	s_and_saveexec_b64 s[2:3], vcc
	s_cbranch_execz .LBB66_12
; %bb.11:                               ;   in Loop: Header=BB66_2 Depth=1
	ds_read_b32 v15, v7 offset:64
	s_waitcnt lgkmcnt(0)
	v_add_u32_e32 v3, v15, v3
.LBB66_12:                              ;   in Loop: Header=BB66_2 Depth=1
	s_or_b64 exec, exec, s[2:3]
	v_cmp_le_u32_e32 vcc, v12, v14
	; wave barrier
	ds_write_b32 v7, v3
	; wave barrier
	s_and_saveexec_b64 s[2:3], vcc
	s_cbranch_execz .LBB66_1
; %bb.13:                               ;   in Loop: Header=BB66_2 Depth=1
	ds_read_b32 v14, v7 offset:128
	s_waitcnt lgkmcnt(0)
	v_add_u32_e32 v3, v14, v3
	s_branch .LBB66_1
.LBB66_14:
	v_mov_b32_e32 v2, s1
	v_add_co_u32_e32 v0, vcc, s0, v0
	v_addc_co_u32_e32 v1, vcc, v2, v1, vcc
	global_store_dword v[0:1], v3, off
	s_endpgm
	.section	.rodata,"a",@progbits
	.p2align	6, 0x0
	.amdhsa_kernel _Z28segmented_warp_reduce_kernelIihLj61ELj100EEvPKT_PT0_PS0_
		.amdhsa_group_segment_fixed_size 244
		.amdhsa_private_segment_fixed_size 0
		.amdhsa_kernarg_size 280
		.amdhsa_user_sgpr_count 6
		.amdhsa_user_sgpr_private_segment_buffer 1
		.amdhsa_user_sgpr_dispatch_ptr 0
		.amdhsa_user_sgpr_queue_ptr 0
		.amdhsa_user_sgpr_kernarg_segment_ptr 1
		.amdhsa_user_sgpr_dispatch_id 0
		.amdhsa_user_sgpr_flat_scratch_init 0
		.amdhsa_user_sgpr_kernarg_preload_length 0
		.amdhsa_user_sgpr_kernarg_preload_offset 0
		.amdhsa_user_sgpr_private_segment_size 0
		.amdhsa_uses_dynamic_stack 0
		.amdhsa_system_sgpr_private_segment_wavefront_offset 0
		.amdhsa_system_sgpr_workgroup_id_x 1
		.amdhsa_system_sgpr_workgroup_id_y 0
		.amdhsa_system_sgpr_workgroup_id_z 0
		.amdhsa_system_sgpr_workgroup_info 0
		.amdhsa_system_vgpr_workitem_id 0
		.amdhsa_next_free_vgpr 16
		.amdhsa_next_free_sgpr 12
		.amdhsa_accum_offset 16
		.amdhsa_reserve_vcc 1
		.amdhsa_reserve_flat_scratch 0
		.amdhsa_float_round_mode_32 0
		.amdhsa_float_round_mode_16_64 0
		.amdhsa_float_denorm_mode_32 3
		.amdhsa_float_denorm_mode_16_64 3
		.amdhsa_dx10_clamp 1
		.amdhsa_ieee_mode 1
		.amdhsa_fp16_overflow 0
		.amdhsa_tg_split 0
		.amdhsa_exception_fp_ieee_invalid_op 0
		.amdhsa_exception_fp_denorm_src 0
		.amdhsa_exception_fp_ieee_div_zero 0
		.amdhsa_exception_fp_ieee_overflow 0
		.amdhsa_exception_fp_ieee_underflow 0
		.amdhsa_exception_fp_ieee_inexact 0
		.amdhsa_exception_int_div_zero 0
	.end_amdhsa_kernel
	.section	.text._Z28segmented_warp_reduce_kernelIihLj61ELj100EEvPKT_PT0_PS0_,"axG",@progbits,_Z28segmented_warp_reduce_kernelIihLj61ELj100EEvPKT_PT0_PS0_,comdat
.Lfunc_end66:
	.size	_Z28segmented_warp_reduce_kernelIihLj61ELj100EEvPKT_PT0_PS0_, .Lfunc_end66-_Z28segmented_warp_reduce_kernelIihLj61ELj100EEvPKT_PT0_PS0_
                                        ; -- End function
	.section	.AMDGPU.csdata,"",@progbits
; Kernel info:
; codeLenInByte = 512
; NumSgprs: 16
; NumVgprs: 16
; NumAgprs: 0
; TotalNumVgprs: 16
; ScratchSize: 0
; MemoryBound: 0
; FloatMode: 240
; IeeeMode: 1
; LDSByteSize: 244 bytes/workgroup (compile time only)
; SGPRBlocks: 1
; VGPRBlocks: 1
; NumSGPRsForWavesPerEU: 16
; NumVGPRsForWavesPerEU: 16
; AccumOffset: 16
; Occupancy: 8
; WaveLimiterHint : 0
; COMPUTE_PGM_RSRC2:SCRATCH_EN: 0
; COMPUTE_PGM_RSRC2:USER_SGPR: 6
; COMPUTE_PGM_RSRC2:TRAP_HANDLER: 0
; COMPUTE_PGM_RSRC2:TGID_X_EN: 1
; COMPUTE_PGM_RSRC2:TGID_Y_EN: 0
; COMPUTE_PGM_RSRC2:TGID_Z_EN: 0
; COMPUTE_PGM_RSRC2:TIDIG_COMP_CNT: 0
; COMPUTE_PGM_RSRC3_GFX90A:ACCUM_OFFSET: 3
; COMPUTE_PGM_RSRC3_GFX90A:TG_SPLIT: 0
	.section	.text._Z28segmented_warp_reduce_kernelIihLj64ELj100EEvPKT_PT0_PS0_,"axG",@progbits,_Z28segmented_warp_reduce_kernelIihLj64ELj100EEvPKT_PT0_PS0_,comdat
	.protected	_Z28segmented_warp_reduce_kernelIihLj64ELj100EEvPKT_PT0_PS0_ ; -- Begin function _Z28segmented_warp_reduce_kernelIihLj64ELj100EEvPKT_PT0_PS0_
	.globl	_Z28segmented_warp_reduce_kernelIihLj64ELj100EEvPKT_PT0_PS0_
	.p2align	8
	.type	_Z28segmented_warp_reduce_kernelIihLj64ELj100EEvPKT_PT0_PS0_,@function
_Z28segmented_warp_reduce_kernelIihLj64ELj100EEvPKT_PT0_PS0_: ; @_Z28segmented_warp_reduce_kernelIihLj64ELj100EEvPKT_PT0_PS0_
; %bb.0:
	s_load_dword s7, s[4:5], 0x24
	s_load_dwordx4 s[0:3], s[4:5], 0x0
	s_load_dwordx2 s[10:11], s[4:5], 0x10
	v_mov_b32_e32 v1, 0
	s_movk_i32 s12, 0x64
	s_waitcnt lgkmcnt(0)
	s_and_b32 s4, s7, 0xffff
	s_mul_i32 s6, s6, s4
	v_add_u32_e32 v0, s6, v0
	global_load_ubyte v9, v0, s[2:3]
	v_lshlrev_b64 v[0:1], 2, v[0:1]
	v_mov_b32_e32 v3, s1
	v_add_co_u32_e32 v2, vcc, s0, v0
	v_addc_co_u32_e32 v3, vcc, v3, v1, vcc
	global_load_dword v2, v[2:3], off
	v_mbcnt_lo_u32_b32 v3, -1, 0
	v_mbcnt_hi_u32_b32 v8, -1, v3
	v_and_b32_e32 v3, 63, v8
	v_cmp_ne_u32_e32 vcc, 63, v3
	v_addc_co_u32_e32 v4, vcc, 0, v8, vcc
	v_cmp_gt_u32_e32 vcc, 62, v3
	v_cndmask_b32_e64 v5, 0, 1, vcc
	v_cmp_gt_u32_e32 vcc, 60, v3
	v_cndmask_b32_e64 v6, 0, 1, vcc
	;; [unrolled: 2-line block ×5, first 2 shown]
	v_lshlrev_b64 v[10:11], v8, -1
	v_add_u32_e32 v12, 1, v8
	v_add_u32_e32 v13, 2, v8
	;; [unrolled: 1-line block ×6, first 2 shown]
	v_lshlrev_b32_e32 v3, 2, v4
	v_lshlrev_b32_e32 v4, 1, v5
	;; [unrolled: 1-line block ×6, first 2 shown]
	v_add_lshl_u32 v4, v4, v8, 2
	v_add_lshl_u32 v5, v5, v8, 2
	;; [unrolled: 1-line block ×5, first 2 shown]
	s_waitcnt vmcnt(1)
	v_cmp_ne_u16_e32 vcc, 0, v9
	v_cndmask_b32_e64 v9, 0, 1, vcc
	v_cmp_ne_u32_e32 vcc, 0, v9
	s_lshr_b64 s[0:1], vcc, 1
	v_and_b32_e32 v9, s1, v11
	v_or_b32_e32 v9, 0x80000000, v9
	v_and_b32_e32 v10, s0, v10
	v_ffbl_b32_e32 v9, v9
	v_ffbl_b32_e32 v10, v10
	v_add_u32_e32 v9, 32, v9
	v_min_u32_e32 v9, v10, v9
	v_cmp_le_u32_e32 vcc, v12, v9
	v_cmp_le_u32_e64 s[0:1], v13, v9
	v_cmp_le_u32_e64 s[2:3], v14, v9
	;; [unrolled: 1-line block ×5, first 2 shown]
.LBB67_1:                               ; =>This Inner Loop Header: Depth=1
	s_waitcnt vmcnt(0)
	ds_bpermute_b32 v9, v3, v2
	s_add_i32 s12, s12, -1
	s_cmp_eq_u32 s12, 0
	s_waitcnt lgkmcnt(0)
	v_cndmask_b32_e32 v9, 0, v9, vcc
	v_add_u32_e32 v2, v9, v2
	ds_bpermute_b32 v9, v4, v2
	s_waitcnt lgkmcnt(0)
	v_cndmask_b32_e64 v9, 0, v9, s[0:1]
	v_add_u32_e32 v2, v2, v9
	ds_bpermute_b32 v9, v5, v2
	s_waitcnt lgkmcnt(0)
	v_cndmask_b32_e64 v9, 0, v9, s[2:3]
	;; [unrolled: 4-line block ×5, first 2 shown]
	v_add_u32_e32 v2, v2, v9
	s_cbranch_scc0 .LBB67_1
; %bb.2:
	v_mov_b32_e32 v3, s11
	v_add_co_u32_e32 v0, vcc, s10, v0
	v_addc_co_u32_e32 v1, vcc, v3, v1, vcc
	global_store_dword v[0:1], v2, off
	s_endpgm
	.section	.rodata,"a",@progbits
	.p2align	6, 0x0
	.amdhsa_kernel _Z28segmented_warp_reduce_kernelIihLj64ELj100EEvPKT_PT0_PS0_
		.amdhsa_group_segment_fixed_size 0
		.amdhsa_private_segment_fixed_size 0
		.amdhsa_kernarg_size 280
		.amdhsa_user_sgpr_count 6
		.amdhsa_user_sgpr_private_segment_buffer 1
		.amdhsa_user_sgpr_dispatch_ptr 0
		.amdhsa_user_sgpr_queue_ptr 0
		.amdhsa_user_sgpr_kernarg_segment_ptr 1
		.amdhsa_user_sgpr_dispatch_id 0
		.amdhsa_user_sgpr_flat_scratch_init 0
		.amdhsa_user_sgpr_kernarg_preload_length 0
		.amdhsa_user_sgpr_kernarg_preload_offset 0
		.amdhsa_user_sgpr_private_segment_size 0
		.amdhsa_uses_dynamic_stack 0
		.amdhsa_system_sgpr_private_segment_wavefront_offset 0
		.amdhsa_system_sgpr_workgroup_id_x 1
		.amdhsa_system_sgpr_workgroup_id_y 0
		.amdhsa_system_sgpr_workgroup_id_z 0
		.amdhsa_system_sgpr_workgroup_info 0
		.amdhsa_system_vgpr_workitem_id 0
		.amdhsa_next_free_vgpr 20
		.amdhsa_next_free_sgpr 13
		.amdhsa_accum_offset 20
		.amdhsa_reserve_vcc 1
		.amdhsa_reserve_flat_scratch 0
		.amdhsa_float_round_mode_32 0
		.amdhsa_float_round_mode_16_64 0
		.amdhsa_float_denorm_mode_32 3
		.amdhsa_float_denorm_mode_16_64 3
		.amdhsa_dx10_clamp 1
		.amdhsa_ieee_mode 1
		.amdhsa_fp16_overflow 0
		.amdhsa_tg_split 0
		.amdhsa_exception_fp_ieee_invalid_op 0
		.amdhsa_exception_fp_denorm_src 0
		.amdhsa_exception_fp_ieee_div_zero 0
		.amdhsa_exception_fp_ieee_overflow 0
		.amdhsa_exception_fp_ieee_underflow 0
		.amdhsa_exception_fp_ieee_inexact 0
		.amdhsa_exception_int_div_zero 0
	.end_amdhsa_kernel
	.section	.text._Z28segmented_warp_reduce_kernelIihLj64ELj100EEvPKT_PT0_PS0_,"axG",@progbits,_Z28segmented_warp_reduce_kernelIihLj64ELj100EEvPKT_PT0_PS0_,comdat
.Lfunc_end67:
	.size	_Z28segmented_warp_reduce_kernelIihLj64ELj100EEvPKT_PT0_PS0_, .Lfunc_end67-_Z28segmented_warp_reduce_kernelIihLj64ELj100EEvPKT_PT0_PS0_
                                        ; -- End function
	.section	.AMDGPU.csdata,"",@progbits
; Kernel info:
; codeLenInByte = 552
; NumSgprs: 17
; NumVgprs: 20
; NumAgprs: 0
; TotalNumVgprs: 20
; ScratchSize: 0
; MemoryBound: 0
; FloatMode: 240
; IeeeMode: 1
; LDSByteSize: 0 bytes/workgroup (compile time only)
; SGPRBlocks: 2
; VGPRBlocks: 2
; NumSGPRsForWavesPerEU: 17
; NumVGPRsForWavesPerEU: 20
; AccumOffset: 20
; Occupancy: 8
; WaveLimiterHint : 0
; COMPUTE_PGM_RSRC2:SCRATCH_EN: 0
; COMPUTE_PGM_RSRC2:USER_SGPR: 6
; COMPUTE_PGM_RSRC2:TRAP_HANDLER: 0
; COMPUTE_PGM_RSRC2:TGID_X_EN: 1
; COMPUTE_PGM_RSRC2:TGID_Y_EN: 0
; COMPUTE_PGM_RSRC2:TGID_Z_EN: 0
; COMPUTE_PGM_RSRC2:TIDIG_COMP_CNT: 0
; COMPUTE_PGM_RSRC3_GFX90A:ACCUM_OFFSET: 4
; COMPUTE_PGM_RSRC3_GFX90A:TG_SPLIT: 0
	.section	.text._Z28segmented_warp_reduce_kernelIfhLj32ELj100EEvPKT_PT0_PS0_,"axG",@progbits,_Z28segmented_warp_reduce_kernelIfhLj32ELj100EEvPKT_PT0_PS0_,comdat
	.protected	_Z28segmented_warp_reduce_kernelIfhLj32ELj100EEvPKT_PT0_PS0_ ; -- Begin function _Z28segmented_warp_reduce_kernelIfhLj32ELj100EEvPKT_PT0_PS0_
	.globl	_Z28segmented_warp_reduce_kernelIfhLj32ELj100EEvPKT_PT0_PS0_
	.p2align	8
	.type	_Z28segmented_warp_reduce_kernelIfhLj32ELj100EEvPKT_PT0_PS0_,@function
_Z28segmented_warp_reduce_kernelIfhLj32ELj100EEvPKT_PT0_PS0_: ; @_Z28segmented_warp_reduce_kernelIfhLj32ELj100EEvPKT_PT0_PS0_
; %bb.0:
	s_load_dword s7, s[4:5], 0x24
	s_load_dwordx4 s[0:3], s[4:5], 0x0
	s_load_dwordx2 s[8:9], s[4:5], 0x10
	v_mov_b32_e32 v1, 0
	s_movk_i32 s10, 0x64
	s_waitcnt lgkmcnt(0)
	s_and_b32 s4, s7, 0xffff
	s_mul_i32 s6, s6, s4
	v_add_u32_e32 v0, s6, v0
	global_load_ubyte v11, v0, s[2:3]
	v_lshlrev_b64 v[0:1], 2, v[0:1]
	v_mov_b32_e32 v3, s1
	v_add_co_u32_e32 v2, vcc, s0, v0
	v_addc_co_u32_e32 v3, vcc, v3, v1, vcc
	global_load_dword v2, v[2:3], off
	v_mbcnt_lo_u32_b32 v3, -1, 0
	v_mbcnt_hi_u32_b32 v7, -1, v3
	v_and_b32_e32 v12, 31, v7
	v_cmp_ne_u32_e32 vcc, 31, v12
	v_addc_co_u32_e32 v3, vcc, 0, v7, vcc
	v_cmp_gt_u32_e32 vcc, 30, v12
	v_cndmask_b32_e64 v4, 0, 1, vcc
	v_cmp_gt_u32_e32 vcc, 28, v12
	v_cndmask_b32_e64 v5, 0, 1, vcc
	;; [unrolled: 2-line block ×4, first 2 shown]
	v_lshlrev_b64 v[8:9], v7, -1
	v_and_b32_e32 v10, 0x60, v7
	v_add_u32_e32 v13, 2, v12
	v_add_u32_e32 v14, 4, v12
	;; [unrolled: 1-line block ×4, first 2 shown]
	v_lshlrev_b32_e32 v4, 1, v4
	v_lshlrev_b32_e32 v5, 2, v5
	;; [unrolled: 1-line block ×5, first 2 shown]
	v_add_lshl_u32 v4, v4, v7, 2
	v_add_lshl_u32 v5, v5, v7, 2
	;; [unrolled: 1-line block ×4, first 2 shown]
	s_waitcnt vmcnt(1)
	v_cmp_ne_u16_e32 vcc, 0, v11
	v_cndmask_b32_e64 v11, 0, 1, vcc
	v_cmp_ne_u32_e32 vcc, 0, v11
	s_lshr_b64 s[0:1], vcc, 1
	v_and_b32_e32 v9, s1, v9
	v_and_b32_e32 v8, s0, v8
	v_lshrrev_b64 v[8:9], v10, v[8:9]
	v_or_b32_e32 v8, 0x80000000, v8
	v_ffbl_b32_e32 v9, v9
	v_add_u32_e32 v9, 32, v9
	v_ffbl_b32_e32 v8, v8
	v_min_u32_e32 v8, v8, v9
	v_cmp_lt_u32_e32 vcc, v12, v8
	v_cmp_gt_u32_e64 s[0:1], v13, v8
	v_cmp_gt_u32_e64 s[2:3], v14, v8
	;; [unrolled: 1-line block ×4, first 2 shown]
.LBB68_1:                               ; =>This Inner Loop Header: Depth=1
	s_waitcnt vmcnt(0)
	ds_bpermute_b32 v8, v3, v2
	s_add_i32 s10, s10, -1
	s_cmp_eq_u32 s10, 0
	s_waitcnt lgkmcnt(0)
	v_add_f32_e32 v8, v2, v8
	v_cndmask_b32_e32 v8, v2, v8, vcc
	ds_bpermute_b32 v9, v4, v8
	s_waitcnt lgkmcnt(0)
	v_add_f32_e32 v9, v8, v9
	v_cndmask_b32_e64 v8, v9, v8, s[0:1]
	ds_bpermute_b32 v9, v5, v8
	v_cndmask_b32_e32 v2, v2, v8, vcc
	s_waitcnt lgkmcnt(0)
	v_add_f32_e32 v9, v8, v9
	v_cndmask_b32_e64 v10, v9, v8, s[2:3]
	ds_bpermute_b32 v11, v6, v10
	v_cndmask_b32_e64 v2, v9, v2, s[2:3]
	s_waitcnt lgkmcnt(0)
	v_add_f32_e32 v11, v10, v11
	v_cndmask_b32_e64 v10, v11, v10, s[4:5]
	ds_bpermute_b32 v12, v7, v10
	v_cndmask_b32_e64 v2, v11, v2, s[4:5]
	s_waitcnt lgkmcnt(0)
	v_add_f32_e32 v8, v10, v12
	v_cndmask_b32_e64 v2, v8, v2, s[6:7]
	s_cbranch_scc0 .LBB68_1
; %bb.2:
	v_mov_b32_e32 v3, s9
	v_add_co_u32_e32 v0, vcc, s8, v0
	v_addc_co_u32_e32 v1, vcc, v3, v1, vcc
	global_store_dword v[0:1], v2, off
	s_endpgm
	.section	.rodata,"a",@progbits
	.p2align	6, 0x0
	.amdhsa_kernel _Z28segmented_warp_reduce_kernelIfhLj32ELj100EEvPKT_PT0_PS0_
		.amdhsa_group_segment_fixed_size 0
		.amdhsa_private_segment_fixed_size 0
		.amdhsa_kernarg_size 280
		.amdhsa_user_sgpr_count 6
		.amdhsa_user_sgpr_private_segment_buffer 1
		.amdhsa_user_sgpr_dispatch_ptr 0
		.amdhsa_user_sgpr_queue_ptr 0
		.amdhsa_user_sgpr_kernarg_segment_ptr 1
		.amdhsa_user_sgpr_dispatch_id 0
		.amdhsa_user_sgpr_flat_scratch_init 0
		.amdhsa_user_sgpr_kernarg_preload_length 0
		.amdhsa_user_sgpr_kernarg_preload_offset 0
		.amdhsa_user_sgpr_private_segment_size 0
		.amdhsa_uses_dynamic_stack 0
		.amdhsa_system_sgpr_private_segment_wavefront_offset 0
		.amdhsa_system_sgpr_workgroup_id_x 1
		.amdhsa_system_sgpr_workgroup_id_y 0
		.amdhsa_system_sgpr_workgroup_id_z 0
		.amdhsa_system_sgpr_workgroup_info 0
		.amdhsa_system_vgpr_workitem_id 0
		.amdhsa_next_free_vgpr 18
		.amdhsa_next_free_sgpr 11
		.amdhsa_accum_offset 20
		.amdhsa_reserve_vcc 1
		.amdhsa_reserve_flat_scratch 0
		.amdhsa_float_round_mode_32 0
		.amdhsa_float_round_mode_16_64 0
		.amdhsa_float_denorm_mode_32 3
		.amdhsa_float_denorm_mode_16_64 3
		.amdhsa_dx10_clamp 1
		.amdhsa_ieee_mode 1
		.amdhsa_fp16_overflow 0
		.amdhsa_tg_split 0
		.amdhsa_exception_fp_ieee_invalid_op 0
		.amdhsa_exception_fp_denorm_src 0
		.amdhsa_exception_fp_ieee_div_zero 0
		.amdhsa_exception_fp_ieee_overflow 0
		.amdhsa_exception_fp_ieee_underflow 0
		.amdhsa_exception_fp_ieee_inexact 0
		.amdhsa_exception_int_div_zero 0
	.end_amdhsa_kernel
	.section	.text._Z28segmented_warp_reduce_kernelIfhLj32ELj100EEvPKT_PT0_PS0_,"axG",@progbits,_Z28segmented_warp_reduce_kernelIfhLj32ELj100EEvPKT_PT0_PS0_,comdat
.Lfunc_end68:
	.size	_Z28segmented_warp_reduce_kernelIfhLj32ELj100EEvPKT_PT0_PS0_, .Lfunc_end68-_Z28segmented_warp_reduce_kernelIfhLj32ELj100EEvPKT_PT0_PS0_
                                        ; -- End function
	.section	.AMDGPU.csdata,"",@progbits
; Kernel info:
; codeLenInByte = 524
; NumSgprs: 15
; NumVgprs: 18
; NumAgprs: 0
; TotalNumVgprs: 18
; ScratchSize: 0
; MemoryBound: 0
; FloatMode: 240
; IeeeMode: 1
; LDSByteSize: 0 bytes/workgroup (compile time only)
; SGPRBlocks: 1
; VGPRBlocks: 2
; NumSGPRsForWavesPerEU: 15
; NumVGPRsForWavesPerEU: 18
; AccumOffset: 20
; Occupancy: 8
; WaveLimiterHint : 0
; COMPUTE_PGM_RSRC2:SCRATCH_EN: 0
; COMPUTE_PGM_RSRC2:USER_SGPR: 6
; COMPUTE_PGM_RSRC2:TRAP_HANDLER: 0
; COMPUTE_PGM_RSRC2:TGID_X_EN: 1
; COMPUTE_PGM_RSRC2:TGID_Y_EN: 0
; COMPUTE_PGM_RSRC2:TGID_Z_EN: 0
; COMPUTE_PGM_RSRC2:TIDIG_COMP_CNT: 0
; COMPUTE_PGM_RSRC3_GFX90A:ACCUM_OFFSET: 4
; COMPUTE_PGM_RSRC3_GFX90A:TG_SPLIT: 0
	.section	.text._Z28segmented_warp_reduce_kernelIfhLj37ELj100EEvPKT_PT0_PS0_,"axG",@progbits,_Z28segmented_warp_reduce_kernelIfhLj37ELj100EEvPKT_PT0_PS0_,comdat
	.protected	_Z28segmented_warp_reduce_kernelIfhLj37ELj100EEvPKT_PT0_PS0_ ; -- Begin function _Z28segmented_warp_reduce_kernelIfhLj37ELj100EEvPKT_PT0_PS0_
	.globl	_Z28segmented_warp_reduce_kernelIfhLj37ELj100EEvPKT_PT0_PS0_
	.p2align	8
	.type	_Z28segmented_warp_reduce_kernelIfhLj37ELj100EEvPKT_PT0_PS0_,@function
_Z28segmented_warp_reduce_kernelIfhLj37ELj100EEvPKT_PT0_PS0_: ; @_Z28segmented_warp_reduce_kernelIfhLj37ELj100EEvPKT_PT0_PS0_
; %bb.0:
	s_load_dword s2, s[4:5], 0x24
	s_load_dwordx4 s[8:11], s[4:5], 0x0
	s_load_dwordx2 s[0:1], s[4:5], 0x10
	v_mov_b32_e32 v3, 0
	s_movk_i32 s4, 0x64
	s_waitcnt lgkmcnt(0)
	s_and_b32 s2, s2, 0xffff
	s_mul_i32 s6, s6, s2
	v_add_u32_e32 v2, s6, v0
	v_lshlrev_b64 v[0:1], 2, v[2:3]
	v_mov_b32_e32 v3, s9
	global_load_ubyte v13, v2, s[10:11]
	v_add_co_u32_e32 v2, vcc, s8, v0
	v_addc_co_u32_e32 v3, vcc, v3, v1, vcc
	global_load_dword v3, v[2:3], off
	v_mbcnt_lo_u32_b32 v2, -1, 0
	v_mbcnt_hi_u32_b32 v4, -1, v2
	s_mov_b32 s2, 0x6eb3e46
	v_mul_hi_u32 v2, v4, s2
	v_mul_u32_u24_e32 v2, 37, v2
	v_sub_u32_e32 v6, v4, v2
	v_lshlrev_b64 v[4:5], v4, -1
	v_lshlrev_b32_e32 v7, 2, v6
	v_add_u32_e32 v8, 2, v6
	v_add_u32_e32 v9, 4, v6
	;; [unrolled: 1-line block ×5, first 2 shown]
	s_waitcnt vmcnt(1)
	v_cmp_ne_u16_e32 vcc, 0, v13
	v_cndmask_b32_e64 v13, 0, 1, vcc
	s_branch .LBB69_2
.LBB69_1:                               ;   in Loop: Header=BB69_2 Depth=1
	s_or_b64 exec, exec, s[2:3]
	s_add_i32 s4, s4, -1
	s_cmp_eq_u32 s4, 0
	; wave barrier
	s_cbranch_scc1 .LBB69_14
.LBB69_2:                               ; =>This Inner Loop Header: Depth=1
	v_cmp_ne_u32_e32 vcc, 0, v13
	s_lshr_b64 s[2:3], vcc, 1
	v_and_b32_e32 v15, s3, v5
	v_and_b32_e32 v14, s2, v4
	v_lshrrev_b64 v[14:15], v2, v[14:15]
	v_or_b32_e32 v15, 16, v15
	v_ffbl_b32_e32 v15, v15
	v_add_u32_e32 v15, 32, v15
	v_ffbl_b32_e32 v14, v14
	v_min_u32_e32 v14, v14, v15
	v_cmp_lt_u32_e32 vcc, v6, v14
	s_waitcnt vmcnt(0)
	ds_write_b32 v7, v3
	; wave barrier
	s_and_saveexec_b64 s[2:3], vcc
	s_cbranch_execz .LBB69_4
; %bb.3:                                ;   in Loop: Header=BB69_2 Depth=1
	ds_read_b32 v15, v7 offset:4
	s_waitcnt lgkmcnt(0)
	v_add_f32_e32 v3, v3, v15
.LBB69_4:                               ;   in Loop: Header=BB69_2 Depth=1
	s_or_b64 exec, exec, s[2:3]
	v_cmp_le_u32_e32 vcc, v8, v14
	; wave barrier
	ds_write_b32 v7, v3
	; wave barrier
	s_and_saveexec_b64 s[2:3], vcc
	s_cbranch_execz .LBB69_6
; %bb.5:                                ;   in Loop: Header=BB69_2 Depth=1
	ds_read_b32 v15, v7 offset:8
	s_waitcnt lgkmcnt(0)
	v_add_f32_e32 v3, v3, v15
.LBB69_6:                               ;   in Loop: Header=BB69_2 Depth=1
	s_or_b64 exec, exec, s[2:3]
	v_cmp_le_u32_e32 vcc, v9, v14
	; wave barrier
	ds_write_b32 v7, v3
	; wave barrier
	s_and_saveexec_b64 s[2:3], vcc
	s_cbranch_execz .LBB69_8
; %bb.7:                                ;   in Loop: Header=BB69_2 Depth=1
	ds_read_b32 v15, v7 offset:16
	s_waitcnt lgkmcnt(0)
	v_add_f32_e32 v3, v3, v15
.LBB69_8:                               ;   in Loop: Header=BB69_2 Depth=1
	s_or_b64 exec, exec, s[2:3]
	v_cmp_le_u32_e32 vcc, v10, v14
	; wave barrier
	ds_write_b32 v7, v3
	; wave barrier
	s_and_saveexec_b64 s[2:3], vcc
	s_cbranch_execz .LBB69_10
; %bb.9:                                ;   in Loop: Header=BB69_2 Depth=1
	ds_read_b32 v15, v7 offset:32
	s_waitcnt lgkmcnt(0)
	v_add_f32_e32 v3, v3, v15
.LBB69_10:                              ;   in Loop: Header=BB69_2 Depth=1
	s_or_b64 exec, exec, s[2:3]
	v_cmp_le_u32_e32 vcc, v11, v14
	; wave barrier
	ds_write_b32 v7, v3
	; wave barrier
	s_and_saveexec_b64 s[2:3], vcc
	s_cbranch_execz .LBB69_12
; %bb.11:                               ;   in Loop: Header=BB69_2 Depth=1
	ds_read_b32 v15, v7 offset:64
	s_waitcnt lgkmcnt(0)
	v_add_f32_e32 v3, v3, v15
.LBB69_12:                              ;   in Loop: Header=BB69_2 Depth=1
	s_or_b64 exec, exec, s[2:3]
	v_cmp_le_u32_e32 vcc, v12, v14
	; wave barrier
	ds_write_b32 v7, v3
	; wave barrier
	s_and_saveexec_b64 s[2:3], vcc
	s_cbranch_execz .LBB69_1
; %bb.13:                               ;   in Loop: Header=BB69_2 Depth=1
	ds_read_b32 v14, v7 offset:128
	s_waitcnt lgkmcnt(0)
	v_add_f32_e32 v3, v3, v14
	s_branch .LBB69_1
.LBB69_14:
	v_mov_b32_e32 v2, s1
	v_add_co_u32_e32 v0, vcc, s0, v0
	v_addc_co_u32_e32 v1, vcc, v2, v1, vcc
	global_store_dword v[0:1], v3, off
	s_endpgm
	.section	.rodata,"a",@progbits
	.p2align	6, 0x0
	.amdhsa_kernel _Z28segmented_warp_reduce_kernelIfhLj37ELj100EEvPKT_PT0_PS0_
		.amdhsa_group_segment_fixed_size 148
		.amdhsa_private_segment_fixed_size 0
		.amdhsa_kernarg_size 280
		.amdhsa_user_sgpr_count 6
		.amdhsa_user_sgpr_private_segment_buffer 1
		.amdhsa_user_sgpr_dispatch_ptr 0
		.amdhsa_user_sgpr_queue_ptr 0
		.amdhsa_user_sgpr_kernarg_segment_ptr 1
		.amdhsa_user_sgpr_dispatch_id 0
		.amdhsa_user_sgpr_flat_scratch_init 0
		.amdhsa_user_sgpr_kernarg_preload_length 0
		.amdhsa_user_sgpr_kernarg_preload_offset 0
		.amdhsa_user_sgpr_private_segment_size 0
		.amdhsa_uses_dynamic_stack 0
		.amdhsa_system_sgpr_private_segment_wavefront_offset 0
		.amdhsa_system_sgpr_workgroup_id_x 1
		.amdhsa_system_sgpr_workgroup_id_y 0
		.amdhsa_system_sgpr_workgroup_id_z 0
		.amdhsa_system_sgpr_workgroup_info 0
		.amdhsa_system_vgpr_workitem_id 0
		.amdhsa_next_free_vgpr 16
		.amdhsa_next_free_sgpr 12
		.amdhsa_accum_offset 16
		.amdhsa_reserve_vcc 1
		.amdhsa_reserve_flat_scratch 0
		.amdhsa_float_round_mode_32 0
		.amdhsa_float_round_mode_16_64 0
		.amdhsa_float_denorm_mode_32 3
		.amdhsa_float_denorm_mode_16_64 3
		.amdhsa_dx10_clamp 1
		.amdhsa_ieee_mode 1
		.amdhsa_fp16_overflow 0
		.amdhsa_tg_split 0
		.amdhsa_exception_fp_ieee_invalid_op 0
		.amdhsa_exception_fp_denorm_src 0
		.amdhsa_exception_fp_ieee_div_zero 0
		.amdhsa_exception_fp_ieee_overflow 0
		.amdhsa_exception_fp_ieee_underflow 0
		.amdhsa_exception_fp_ieee_inexact 0
		.amdhsa_exception_int_div_zero 0
	.end_amdhsa_kernel
	.section	.text._Z28segmented_warp_reduce_kernelIfhLj37ELj100EEvPKT_PT0_PS0_,"axG",@progbits,_Z28segmented_warp_reduce_kernelIfhLj37ELj100EEvPKT_PT0_PS0_,comdat
.Lfunc_end69:
	.size	_Z28segmented_warp_reduce_kernelIfhLj37ELj100EEvPKT_PT0_PS0_, .Lfunc_end69-_Z28segmented_warp_reduce_kernelIfhLj37ELj100EEvPKT_PT0_PS0_
                                        ; -- End function
	.section	.AMDGPU.csdata,"",@progbits
; Kernel info:
; codeLenInByte = 508
; NumSgprs: 16
; NumVgprs: 16
; NumAgprs: 0
; TotalNumVgprs: 16
; ScratchSize: 0
; MemoryBound: 0
; FloatMode: 240
; IeeeMode: 1
; LDSByteSize: 148 bytes/workgroup (compile time only)
; SGPRBlocks: 1
; VGPRBlocks: 1
; NumSGPRsForWavesPerEU: 16
; NumVGPRsForWavesPerEU: 16
; AccumOffset: 16
; Occupancy: 8
; WaveLimiterHint : 0
; COMPUTE_PGM_RSRC2:SCRATCH_EN: 0
; COMPUTE_PGM_RSRC2:USER_SGPR: 6
; COMPUTE_PGM_RSRC2:TRAP_HANDLER: 0
; COMPUTE_PGM_RSRC2:TGID_X_EN: 1
; COMPUTE_PGM_RSRC2:TGID_Y_EN: 0
; COMPUTE_PGM_RSRC2:TGID_Z_EN: 0
; COMPUTE_PGM_RSRC2:TIDIG_COMP_CNT: 0
; COMPUTE_PGM_RSRC3_GFX90A:ACCUM_OFFSET: 3
; COMPUTE_PGM_RSRC3_GFX90A:TG_SPLIT: 0
	.section	.text._Z28segmented_warp_reduce_kernelIfhLj61ELj100EEvPKT_PT0_PS0_,"axG",@progbits,_Z28segmented_warp_reduce_kernelIfhLj61ELj100EEvPKT_PT0_PS0_,comdat
	.protected	_Z28segmented_warp_reduce_kernelIfhLj61ELj100EEvPKT_PT0_PS0_ ; -- Begin function _Z28segmented_warp_reduce_kernelIfhLj61ELj100EEvPKT_PT0_PS0_
	.globl	_Z28segmented_warp_reduce_kernelIfhLj61ELj100EEvPKT_PT0_PS0_
	.p2align	8
	.type	_Z28segmented_warp_reduce_kernelIfhLj61ELj100EEvPKT_PT0_PS0_,@function
_Z28segmented_warp_reduce_kernelIfhLj61ELj100EEvPKT_PT0_PS0_: ; @_Z28segmented_warp_reduce_kernelIfhLj61ELj100EEvPKT_PT0_PS0_
; %bb.0:
	s_load_dword s2, s[4:5], 0x24
	s_load_dwordx4 s[8:11], s[4:5], 0x0
	s_load_dwordx2 s[0:1], s[4:5], 0x10
	v_mov_b32_e32 v3, 0
	s_movk_i32 s4, 0x64
	s_waitcnt lgkmcnt(0)
	s_and_b32 s2, s2, 0xffff
	s_mul_i32 s6, s6, s2
	v_add_u32_e32 v2, s6, v0
	v_lshlrev_b64 v[0:1], 2, v[2:3]
	v_mov_b32_e32 v3, s9
	global_load_ubyte v13, v2, s[10:11]
	v_add_co_u32_e32 v2, vcc, s8, v0
	v_addc_co_u32_e32 v3, vcc, v3, v1, vcc
	global_load_dword v3, v[2:3], off
	v_mbcnt_lo_u32_b32 v2, -1, 0
	v_mbcnt_hi_u32_b32 v4, -1, v2
	s_mov_b32 s2, 0x4325c54
	v_mul_hi_u32 v2, v4, s2
	v_mul_u32_u24_e32 v2, 61, v2
	v_sub_u32_e32 v6, v4, v2
	v_lshlrev_b64 v[4:5], v4, -1
	v_lshlrev_b32_e32 v7, 2, v6
	v_add_u32_e32 v8, 2, v6
	v_add_u32_e32 v9, 4, v6
	;; [unrolled: 1-line block ×5, first 2 shown]
	s_waitcnt vmcnt(1)
	v_cmp_ne_u16_e32 vcc, 0, v13
	v_cndmask_b32_e64 v13, 0, 1, vcc
	s_branch .LBB70_2
.LBB70_1:                               ;   in Loop: Header=BB70_2 Depth=1
	s_or_b64 exec, exec, s[2:3]
	s_add_i32 s4, s4, -1
	s_cmp_eq_u32 s4, 0
	; wave barrier
	s_cbranch_scc1 .LBB70_14
.LBB70_2:                               ; =>This Inner Loop Header: Depth=1
	v_cmp_ne_u32_e32 vcc, 0, v13
	s_lshr_b64 s[2:3], vcc, 1
	v_and_b32_e32 v15, s3, v5
	v_and_b32_e32 v14, s2, v4
	v_lshrrev_b64 v[14:15], v2, v[14:15]
	v_or_b32_e32 v15, 0x10000000, v15
	v_ffbl_b32_e32 v15, v15
	v_add_u32_e32 v15, 32, v15
	v_ffbl_b32_e32 v14, v14
	v_min_u32_e32 v14, v14, v15
	v_cmp_lt_u32_e32 vcc, v6, v14
	s_waitcnt vmcnt(0)
	ds_write_b32 v7, v3
	; wave barrier
	s_and_saveexec_b64 s[2:3], vcc
	s_cbranch_execz .LBB70_4
; %bb.3:                                ;   in Loop: Header=BB70_2 Depth=1
	ds_read_b32 v15, v7 offset:4
	s_waitcnt lgkmcnt(0)
	v_add_f32_e32 v3, v3, v15
.LBB70_4:                               ;   in Loop: Header=BB70_2 Depth=1
	s_or_b64 exec, exec, s[2:3]
	v_cmp_le_u32_e32 vcc, v8, v14
	; wave barrier
	ds_write_b32 v7, v3
	; wave barrier
	s_and_saveexec_b64 s[2:3], vcc
	s_cbranch_execz .LBB70_6
; %bb.5:                                ;   in Loop: Header=BB70_2 Depth=1
	ds_read_b32 v15, v7 offset:8
	s_waitcnt lgkmcnt(0)
	v_add_f32_e32 v3, v3, v15
.LBB70_6:                               ;   in Loop: Header=BB70_2 Depth=1
	s_or_b64 exec, exec, s[2:3]
	v_cmp_le_u32_e32 vcc, v9, v14
	; wave barrier
	;; [unrolled: 12-line block ×3, first 2 shown]
	ds_write_b32 v7, v3
	; wave barrier
	s_and_saveexec_b64 s[2:3], vcc
	s_cbranch_execz .LBB70_10
; %bb.9:                                ;   in Loop: Header=BB70_2 Depth=1
	ds_read_b32 v15, v7 offset:32
	s_waitcnt lgkmcnt(0)
	v_add_f32_e32 v3, v3, v15
.LBB70_10:                              ;   in Loop: Header=BB70_2 Depth=1
	s_or_b64 exec, exec, s[2:3]
	v_cmp_le_u32_e32 vcc, v11, v14
	; wave barrier
	ds_write_b32 v7, v3
	; wave barrier
	s_and_saveexec_b64 s[2:3], vcc
	s_cbranch_execz .LBB70_12
; %bb.11:                               ;   in Loop: Header=BB70_2 Depth=1
	ds_read_b32 v15, v7 offset:64
	s_waitcnt lgkmcnt(0)
	v_add_f32_e32 v3, v3, v15
.LBB70_12:                              ;   in Loop: Header=BB70_2 Depth=1
	s_or_b64 exec, exec, s[2:3]
	v_cmp_le_u32_e32 vcc, v12, v14
	; wave barrier
	ds_write_b32 v7, v3
	; wave barrier
	s_and_saveexec_b64 s[2:3], vcc
	s_cbranch_execz .LBB70_1
; %bb.13:                               ;   in Loop: Header=BB70_2 Depth=1
	ds_read_b32 v14, v7 offset:128
	s_waitcnt lgkmcnt(0)
	v_add_f32_e32 v3, v3, v14
	s_branch .LBB70_1
.LBB70_14:
	v_mov_b32_e32 v2, s1
	v_add_co_u32_e32 v0, vcc, s0, v0
	v_addc_co_u32_e32 v1, vcc, v2, v1, vcc
	global_store_dword v[0:1], v3, off
	s_endpgm
	.section	.rodata,"a",@progbits
	.p2align	6, 0x0
	.amdhsa_kernel _Z28segmented_warp_reduce_kernelIfhLj61ELj100EEvPKT_PT0_PS0_
		.amdhsa_group_segment_fixed_size 244
		.amdhsa_private_segment_fixed_size 0
		.amdhsa_kernarg_size 280
		.amdhsa_user_sgpr_count 6
		.amdhsa_user_sgpr_private_segment_buffer 1
		.amdhsa_user_sgpr_dispatch_ptr 0
		.amdhsa_user_sgpr_queue_ptr 0
		.amdhsa_user_sgpr_kernarg_segment_ptr 1
		.amdhsa_user_sgpr_dispatch_id 0
		.amdhsa_user_sgpr_flat_scratch_init 0
		.amdhsa_user_sgpr_kernarg_preload_length 0
		.amdhsa_user_sgpr_kernarg_preload_offset 0
		.amdhsa_user_sgpr_private_segment_size 0
		.amdhsa_uses_dynamic_stack 0
		.amdhsa_system_sgpr_private_segment_wavefront_offset 0
		.amdhsa_system_sgpr_workgroup_id_x 1
		.amdhsa_system_sgpr_workgroup_id_y 0
		.amdhsa_system_sgpr_workgroup_id_z 0
		.amdhsa_system_sgpr_workgroup_info 0
		.amdhsa_system_vgpr_workitem_id 0
		.amdhsa_next_free_vgpr 16
		.amdhsa_next_free_sgpr 12
		.amdhsa_accum_offset 16
		.amdhsa_reserve_vcc 1
		.amdhsa_reserve_flat_scratch 0
		.amdhsa_float_round_mode_32 0
		.amdhsa_float_round_mode_16_64 0
		.amdhsa_float_denorm_mode_32 3
		.amdhsa_float_denorm_mode_16_64 3
		.amdhsa_dx10_clamp 1
		.amdhsa_ieee_mode 1
		.amdhsa_fp16_overflow 0
		.amdhsa_tg_split 0
		.amdhsa_exception_fp_ieee_invalid_op 0
		.amdhsa_exception_fp_denorm_src 0
		.amdhsa_exception_fp_ieee_div_zero 0
		.amdhsa_exception_fp_ieee_overflow 0
		.amdhsa_exception_fp_ieee_underflow 0
		.amdhsa_exception_fp_ieee_inexact 0
		.amdhsa_exception_int_div_zero 0
	.end_amdhsa_kernel
	.section	.text._Z28segmented_warp_reduce_kernelIfhLj61ELj100EEvPKT_PT0_PS0_,"axG",@progbits,_Z28segmented_warp_reduce_kernelIfhLj61ELj100EEvPKT_PT0_PS0_,comdat
.Lfunc_end70:
	.size	_Z28segmented_warp_reduce_kernelIfhLj61ELj100EEvPKT_PT0_PS0_, .Lfunc_end70-_Z28segmented_warp_reduce_kernelIfhLj61ELj100EEvPKT_PT0_PS0_
                                        ; -- End function
	.section	.AMDGPU.csdata,"",@progbits
; Kernel info:
; codeLenInByte = 512
; NumSgprs: 16
; NumVgprs: 16
; NumAgprs: 0
; TotalNumVgprs: 16
; ScratchSize: 0
; MemoryBound: 0
; FloatMode: 240
; IeeeMode: 1
; LDSByteSize: 244 bytes/workgroup (compile time only)
; SGPRBlocks: 1
; VGPRBlocks: 1
; NumSGPRsForWavesPerEU: 16
; NumVGPRsForWavesPerEU: 16
; AccumOffset: 16
; Occupancy: 8
; WaveLimiterHint : 0
; COMPUTE_PGM_RSRC2:SCRATCH_EN: 0
; COMPUTE_PGM_RSRC2:USER_SGPR: 6
; COMPUTE_PGM_RSRC2:TRAP_HANDLER: 0
; COMPUTE_PGM_RSRC2:TGID_X_EN: 1
; COMPUTE_PGM_RSRC2:TGID_Y_EN: 0
; COMPUTE_PGM_RSRC2:TGID_Z_EN: 0
; COMPUTE_PGM_RSRC2:TIDIG_COMP_CNT: 0
; COMPUTE_PGM_RSRC3_GFX90A:ACCUM_OFFSET: 3
; COMPUTE_PGM_RSRC3_GFX90A:TG_SPLIT: 0
	.section	.text._Z28segmented_warp_reduce_kernelIfhLj64ELj100EEvPKT_PT0_PS0_,"axG",@progbits,_Z28segmented_warp_reduce_kernelIfhLj64ELj100EEvPKT_PT0_PS0_,comdat
	.protected	_Z28segmented_warp_reduce_kernelIfhLj64ELj100EEvPKT_PT0_PS0_ ; -- Begin function _Z28segmented_warp_reduce_kernelIfhLj64ELj100EEvPKT_PT0_PS0_
	.globl	_Z28segmented_warp_reduce_kernelIfhLj64ELj100EEvPKT_PT0_PS0_
	.p2align	8
	.type	_Z28segmented_warp_reduce_kernelIfhLj64ELj100EEvPKT_PT0_PS0_,@function
_Z28segmented_warp_reduce_kernelIfhLj64ELj100EEvPKT_PT0_PS0_: ; @_Z28segmented_warp_reduce_kernelIfhLj64ELj100EEvPKT_PT0_PS0_
; %bb.0:
	s_load_dword s7, s[4:5], 0x24
	s_load_dwordx4 s[0:3], s[4:5], 0x0
	s_load_dwordx2 s[10:11], s[4:5], 0x10
	v_mov_b32_e32 v1, 0
	s_movk_i32 s12, 0x64
	s_waitcnt lgkmcnt(0)
	s_and_b32 s4, s7, 0xffff
	s_mul_i32 s6, s6, s4
	v_add_u32_e32 v0, s6, v0
	global_load_ubyte v9, v0, s[2:3]
	v_lshlrev_b64 v[0:1], 2, v[0:1]
	v_mov_b32_e32 v3, s1
	v_add_co_u32_e32 v2, vcc, s0, v0
	v_addc_co_u32_e32 v3, vcc, v3, v1, vcc
	global_load_dword v2, v[2:3], off
	v_mbcnt_lo_u32_b32 v3, -1, 0
	v_mbcnt_hi_u32_b32 v8, -1, v3
	v_and_b32_e32 v3, 63, v8
	v_cmp_ne_u32_e32 vcc, 63, v3
	v_addc_co_u32_e32 v4, vcc, 0, v8, vcc
	v_cmp_gt_u32_e32 vcc, 62, v3
	v_cndmask_b32_e64 v5, 0, 1, vcc
	v_cmp_gt_u32_e32 vcc, 60, v3
	v_cndmask_b32_e64 v6, 0, 1, vcc
	;; [unrolled: 2-line block ×5, first 2 shown]
	v_lshlrev_b64 v[10:11], v8, -1
	v_add_u32_e32 v12, 1, v8
	v_add_u32_e32 v13, 2, v8
	;; [unrolled: 1-line block ×6, first 2 shown]
	v_lshlrev_b32_e32 v3, 2, v4
	v_lshlrev_b32_e32 v4, 1, v5
	;; [unrolled: 1-line block ×6, first 2 shown]
	v_add_lshl_u32 v4, v4, v8, 2
	v_add_lshl_u32 v5, v5, v8, 2
	;; [unrolled: 1-line block ×5, first 2 shown]
	s_waitcnt vmcnt(1)
	v_cmp_ne_u16_e32 vcc, 0, v9
	v_cndmask_b32_e64 v9, 0, 1, vcc
	v_cmp_ne_u32_e32 vcc, 0, v9
	s_lshr_b64 s[0:1], vcc, 1
	v_and_b32_e32 v9, s1, v11
	v_or_b32_e32 v9, 0x80000000, v9
	v_and_b32_e32 v10, s0, v10
	v_ffbl_b32_e32 v9, v9
	v_ffbl_b32_e32 v10, v10
	v_add_u32_e32 v9, 32, v9
	v_min_u32_e32 v9, v10, v9
	v_cmp_gt_u32_e32 vcc, v12, v9
	v_cmp_gt_u32_e64 s[0:1], v13, v9
	v_cmp_gt_u32_e64 s[2:3], v14, v9
	;; [unrolled: 1-line block ×5, first 2 shown]
.LBB71_1:                               ; =>This Inner Loop Header: Depth=1
	s_waitcnt vmcnt(0)
	ds_bpermute_b32 v9, v3, v2
	s_add_i32 s12, s12, -1
	s_cmp_eq_u32 s12, 0
	s_waitcnt lgkmcnt(0)
	v_add_f32_e32 v9, v2, v9
	v_cndmask_b32_e32 v2, v9, v2, vcc
	ds_bpermute_b32 v9, v4, v2
	s_waitcnt lgkmcnt(0)
	v_add_f32_e32 v9, v2, v9
	v_cndmask_b32_e64 v2, v9, v2, s[0:1]
	ds_bpermute_b32 v9, v5, v2
	s_waitcnt lgkmcnt(0)
	v_add_f32_e32 v9, v2, v9
	v_cndmask_b32_e64 v2, v9, v2, s[2:3]
	;; [unrolled: 4-line block ×5, first 2 shown]
	s_cbranch_scc0 .LBB71_1
; %bb.2:
	v_mov_b32_e32 v3, s11
	v_add_co_u32_e32 v0, vcc, s10, v0
	v_addc_co_u32_e32 v1, vcc, v3, v1, vcc
	global_store_dword v[0:1], v2, off
	s_endpgm
	.section	.rodata,"a",@progbits
	.p2align	6, 0x0
	.amdhsa_kernel _Z28segmented_warp_reduce_kernelIfhLj64ELj100EEvPKT_PT0_PS0_
		.amdhsa_group_segment_fixed_size 0
		.amdhsa_private_segment_fixed_size 0
		.amdhsa_kernarg_size 280
		.amdhsa_user_sgpr_count 6
		.amdhsa_user_sgpr_private_segment_buffer 1
		.amdhsa_user_sgpr_dispatch_ptr 0
		.amdhsa_user_sgpr_queue_ptr 0
		.amdhsa_user_sgpr_kernarg_segment_ptr 1
		.amdhsa_user_sgpr_dispatch_id 0
		.amdhsa_user_sgpr_flat_scratch_init 0
		.amdhsa_user_sgpr_kernarg_preload_length 0
		.amdhsa_user_sgpr_kernarg_preload_offset 0
		.amdhsa_user_sgpr_private_segment_size 0
		.amdhsa_uses_dynamic_stack 0
		.amdhsa_system_sgpr_private_segment_wavefront_offset 0
		.amdhsa_system_sgpr_workgroup_id_x 1
		.amdhsa_system_sgpr_workgroup_id_y 0
		.amdhsa_system_sgpr_workgroup_id_z 0
		.amdhsa_system_sgpr_workgroup_info 0
		.amdhsa_system_vgpr_workitem_id 0
		.amdhsa_next_free_vgpr 20
		.amdhsa_next_free_sgpr 13
		.amdhsa_accum_offset 20
		.amdhsa_reserve_vcc 1
		.amdhsa_reserve_flat_scratch 0
		.amdhsa_float_round_mode_32 0
		.amdhsa_float_round_mode_16_64 0
		.amdhsa_float_denorm_mode_32 3
		.amdhsa_float_denorm_mode_16_64 3
		.amdhsa_dx10_clamp 1
		.amdhsa_ieee_mode 1
		.amdhsa_fp16_overflow 0
		.amdhsa_tg_split 0
		.amdhsa_exception_fp_ieee_invalid_op 0
		.amdhsa_exception_fp_denorm_src 0
		.amdhsa_exception_fp_ieee_div_zero 0
		.amdhsa_exception_fp_ieee_overflow 0
		.amdhsa_exception_fp_ieee_underflow 0
		.amdhsa_exception_fp_ieee_inexact 0
		.amdhsa_exception_int_div_zero 0
	.end_amdhsa_kernel
	.section	.text._Z28segmented_warp_reduce_kernelIfhLj64ELj100EEvPKT_PT0_PS0_,"axG",@progbits,_Z28segmented_warp_reduce_kernelIfhLj64ELj100EEvPKT_PT0_PS0_,comdat
.Lfunc_end71:
	.size	_Z28segmented_warp_reduce_kernelIfhLj64ELj100EEvPKT_PT0_PS0_, .Lfunc_end71-_Z28segmented_warp_reduce_kernelIfhLj64ELj100EEvPKT_PT0_PS0_
                                        ; -- End function
	.section	.AMDGPU.csdata,"",@progbits
; Kernel info:
; codeLenInByte = 552
; NumSgprs: 17
; NumVgprs: 20
; NumAgprs: 0
; TotalNumVgprs: 20
; ScratchSize: 0
; MemoryBound: 0
; FloatMode: 240
; IeeeMode: 1
; LDSByteSize: 0 bytes/workgroup (compile time only)
; SGPRBlocks: 2
; VGPRBlocks: 2
; NumSGPRsForWavesPerEU: 17
; NumVGPRsForWavesPerEU: 20
; AccumOffset: 20
; Occupancy: 8
; WaveLimiterHint : 0
; COMPUTE_PGM_RSRC2:SCRATCH_EN: 0
; COMPUTE_PGM_RSRC2:USER_SGPR: 6
; COMPUTE_PGM_RSRC2:TRAP_HANDLER: 0
; COMPUTE_PGM_RSRC2:TGID_X_EN: 1
; COMPUTE_PGM_RSRC2:TGID_Y_EN: 0
; COMPUTE_PGM_RSRC2:TGID_Z_EN: 0
; COMPUTE_PGM_RSRC2:TIDIG_COMP_CNT: 0
; COMPUTE_PGM_RSRC3_GFX90A:ACCUM_OFFSET: 4
; COMPUTE_PGM_RSRC3_GFX90A:TG_SPLIT: 0
	.section	.text._Z28segmented_warp_reduce_kernelIdhLj32ELj100EEvPKT_PT0_PS0_,"axG",@progbits,_Z28segmented_warp_reduce_kernelIdhLj32ELj100EEvPKT_PT0_PS0_,comdat
	.protected	_Z28segmented_warp_reduce_kernelIdhLj32ELj100EEvPKT_PT0_PS0_ ; -- Begin function _Z28segmented_warp_reduce_kernelIdhLj32ELj100EEvPKT_PT0_PS0_
	.globl	_Z28segmented_warp_reduce_kernelIdhLj32ELj100EEvPKT_PT0_PS0_
	.p2align	8
	.type	_Z28segmented_warp_reduce_kernelIdhLj32ELj100EEvPKT_PT0_PS0_,@function
_Z28segmented_warp_reduce_kernelIdhLj32ELj100EEvPKT_PT0_PS0_: ; @_Z28segmented_warp_reduce_kernelIdhLj32ELj100EEvPKT_PT0_PS0_
; %bb.0:
	s_load_dword s7, s[4:5], 0x24
	s_load_dwordx4 s[0:3], s[4:5], 0x0
	s_load_dwordx2 s[8:9], s[4:5], 0x10
	v_mov_b32_e32 v1, 0
	v_mbcnt_lo_u32_b32 v4, -1, 0
	s_waitcnt lgkmcnt(0)
	s_and_b32 s4, s7, 0xffff
	s_mul_i32 s6, s6, s4
	v_add_u32_e32 v0, s6, v0
	global_load_ubyte v9, v0, s[2:3]
	v_lshlrev_b64 v[0:1], 3, v[0:1]
	v_mov_b32_e32 v3, s1
	v_add_co_u32_e32 v2, vcc, s0, v0
	v_addc_co_u32_e32 v3, vcc, v3, v1, vcc
	global_load_dwordx2 v[2:3], v[2:3], off
	v_mbcnt_hi_u32_b32 v8, -1, v4
	v_and_b32_e32 v13, 31, v8
	v_cmp_ne_u32_e32 vcc, 31, v13
	v_addc_co_u32_e32 v4, vcc, 0, v8, vcc
	v_cmp_gt_u32_e32 vcc, 30, v13
	v_cndmask_b32_e64 v5, 0, 1, vcc
	v_cmp_gt_u32_e32 vcc, 28, v13
	v_cndmask_b32_e64 v6, 0, 1, vcc
	;; [unrolled: 2-line block ×4, first 2 shown]
	v_lshlrev_b64 v[10:11], v8, -1
	v_and_b32_e32 v12, 0x60, v8
	v_add_u32_e32 v14, 2, v13
	v_add_u32_e32 v15, 4, v13
	;; [unrolled: 1-line block ×4, first 2 shown]
	v_lshlrev_b32_e32 v5, 1, v5
	v_lshlrev_b32_e32 v6, 2, v6
	;; [unrolled: 1-line block ×4, first 2 shown]
	s_movk_i32 s10, 0x64
	v_lshlrev_b32_e32 v4, 2, v4
	v_add_lshl_u32 v5, v5, v8, 2
	v_add_lshl_u32 v6, v6, v8, 2
	;; [unrolled: 1-line block ×4, first 2 shown]
	s_waitcnt vmcnt(1)
	v_cmp_ne_u16_e32 vcc, 0, v9
	v_cndmask_b32_e64 v9, 0, 1, vcc
	v_cmp_ne_u32_e32 vcc, 0, v9
	s_lshr_b64 s[0:1], vcc, 1
	v_and_b32_e32 v11, s1, v11
	v_and_b32_e32 v10, s0, v10
	v_lshrrev_b64 v[10:11], v12, v[10:11]
	v_or_b32_e32 v9, 0x80000000, v10
	v_ffbl_b32_e32 v10, v11
	v_add_u32_e32 v10, 32, v10
	v_ffbl_b32_e32 v9, v9
	v_min_u32_e32 v9, v9, v10
	v_cmp_lt_u32_e32 vcc, v13, v9
	v_cmp_gt_u32_e64 s[0:1], v14, v9
	v_cmp_gt_u32_e64 s[2:3], v15, v9
	;; [unrolled: 1-line block ×4, first 2 shown]
.LBB72_1:                               ; =>This Inner Loop Header: Depth=1
	s_waitcnt vmcnt(0)
	ds_bpermute_b32 v10, v4, v2
	ds_bpermute_b32 v11, v4, v3
	s_add_i32 s10, s10, -1
	s_cmp_eq_u32 s10, 0
	s_waitcnt lgkmcnt(0)
	v_add_f64 v[10:11], v[2:3], v[10:11]
	v_cndmask_b32_e32 v10, v2, v10, vcc
	v_cndmask_b32_e32 v11, v3, v11, vcc
	ds_bpermute_b32 v12, v5, v10
	ds_bpermute_b32 v13, v5, v11
	s_waitcnt lgkmcnt(0)
	v_add_f64 v[12:13], v[10:11], v[12:13]
	v_cndmask_b32_e64 v10, v12, v10, s[0:1]
	v_cndmask_b32_e64 v11, v13, v11, s[0:1]
	ds_bpermute_b32 v12, v6, v10
	ds_bpermute_b32 v13, v6, v11
	v_cndmask_b32_e32 v9, v2, v10, vcc
	v_cndmask_b32_e32 v18, v3, v11, vcc
	s_waitcnt lgkmcnt(0)
	v_add_f64 v[12:13], v[10:11], v[12:13]
	v_cndmask_b32_e64 v14, v12, v10, s[2:3]
	v_cndmask_b32_e64 v15, v13, v11, s[2:3]
	ds_bpermute_b32 v16, v7, v14
	ds_bpermute_b32 v17, v7, v15
	v_cndmask_b32_e64 v13, v13, v18, s[2:3]
	v_cndmask_b32_e64 v9, v12, v9, s[2:3]
	s_waitcnt lgkmcnt(0)
	v_add_f64 v[2:3], v[14:15], v[16:17]
	v_cndmask_b32_e64 v10, v2, v14, s[4:5]
	v_cndmask_b32_e64 v11, v3, v15, s[4:5]
	ds_bpermute_b32 v14, v8, v10
	ds_bpermute_b32 v15, v8, v11
	v_cndmask_b32_e64 v9, v2, v9, s[4:5]
	v_cndmask_b32_e64 v12, v3, v13, s[4:5]
	s_waitcnt lgkmcnt(0)
	v_add_f64 v[2:3], v[10:11], v[14:15]
	v_cndmask_b32_e64 v3, v3, v12, s[6:7]
	v_cndmask_b32_e64 v2, v2, v9, s[6:7]
	s_cbranch_scc0 .LBB72_1
; %bb.2:
	v_mov_b32_e32 v4, s9
	v_add_co_u32_e32 v0, vcc, s8, v0
	v_addc_co_u32_e32 v1, vcc, v4, v1, vcc
	global_store_dwordx2 v[0:1], v[2:3], off
	s_endpgm
	.section	.rodata,"a",@progbits
	.p2align	6, 0x0
	.amdhsa_kernel _Z28segmented_warp_reduce_kernelIdhLj32ELj100EEvPKT_PT0_PS0_
		.amdhsa_group_segment_fixed_size 0
		.amdhsa_private_segment_fixed_size 0
		.amdhsa_kernarg_size 280
		.amdhsa_user_sgpr_count 6
		.amdhsa_user_sgpr_private_segment_buffer 1
		.amdhsa_user_sgpr_dispatch_ptr 0
		.amdhsa_user_sgpr_queue_ptr 0
		.amdhsa_user_sgpr_kernarg_segment_ptr 1
		.amdhsa_user_sgpr_dispatch_id 0
		.amdhsa_user_sgpr_flat_scratch_init 0
		.amdhsa_user_sgpr_kernarg_preload_length 0
		.amdhsa_user_sgpr_kernarg_preload_offset 0
		.amdhsa_user_sgpr_private_segment_size 0
		.amdhsa_uses_dynamic_stack 0
		.amdhsa_system_sgpr_private_segment_wavefront_offset 0
		.amdhsa_system_sgpr_workgroup_id_x 1
		.amdhsa_system_sgpr_workgroup_id_y 0
		.amdhsa_system_sgpr_workgroup_id_z 0
		.amdhsa_system_sgpr_workgroup_info 0
		.amdhsa_system_vgpr_workitem_id 0
		.amdhsa_next_free_vgpr 19
		.amdhsa_next_free_sgpr 11
		.amdhsa_accum_offset 20
		.amdhsa_reserve_vcc 1
		.amdhsa_reserve_flat_scratch 0
		.amdhsa_float_round_mode_32 0
		.amdhsa_float_round_mode_16_64 0
		.amdhsa_float_denorm_mode_32 3
		.amdhsa_float_denorm_mode_16_64 3
		.amdhsa_dx10_clamp 1
		.amdhsa_ieee_mode 1
		.amdhsa_fp16_overflow 0
		.amdhsa_tg_split 0
		.amdhsa_exception_fp_ieee_invalid_op 0
		.amdhsa_exception_fp_denorm_src 0
		.amdhsa_exception_fp_ieee_div_zero 0
		.amdhsa_exception_fp_ieee_overflow 0
		.amdhsa_exception_fp_ieee_underflow 0
		.amdhsa_exception_fp_ieee_inexact 0
		.amdhsa_exception_int_div_zero 0
	.end_amdhsa_kernel
	.section	.text._Z28segmented_warp_reduce_kernelIdhLj32ELj100EEvPKT_PT0_PS0_,"axG",@progbits,_Z28segmented_warp_reduce_kernelIdhLj32ELj100EEvPKT_PT0_PS0_,comdat
.Lfunc_end72:
	.size	_Z28segmented_warp_reduce_kernelIdhLj32ELj100EEvPKT_PT0_PS0_, .Lfunc_end72-_Z28segmented_warp_reduce_kernelIdhLj32ELj100EEvPKT_PT0_PS0_
                                        ; -- End function
	.section	.AMDGPU.csdata,"",@progbits
; Kernel info:
; codeLenInByte = 640
; NumSgprs: 15
; NumVgprs: 19
; NumAgprs: 0
; TotalNumVgprs: 19
; ScratchSize: 0
; MemoryBound: 0
; FloatMode: 240
; IeeeMode: 1
; LDSByteSize: 0 bytes/workgroup (compile time only)
; SGPRBlocks: 1
; VGPRBlocks: 2
; NumSGPRsForWavesPerEU: 15
; NumVGPRsForWavesPerEU: 19
; AccumOffset: 20
; Occupancy: 8
; WaveLimiterHint : 0
; COMPUTE_PGM_RSRC2:SCRATCH_EN: 0
; COMPUTE_PGM_RSRC2:USER_SGPR: 6
; COMPUTE_PGM_RSRC2:TRAP_HANDLER: 0
; COMPUTE_PGM_RSRC2:TGID_X_EN: 1
; COMPUTE_PGM_RSRC2:TGID_Y_EN: 0
; COMPUTE_PGM_RSRC2:TGID_Z_EN: 0
; COMPUTE_PGM_RSRC2:TIDIG_COMP_CNT: 0
; COMPUTE_PGM_RSRC3_GFX90A:ACCUM_OFFSET: 4
; COMPUTE_PGM_RSRC3_GFX90A:TG_SPLIT: 0
	.section	.text._Z28segmented_warp_reduce_kernelIdhLj37ELj100EEvPKT_PT0_PS0_,"axG",@progbits,_Z28segmented_warp_reduce_kernelIdhLj37ELj100EEvPKT_PT0_PS0_,comdat
	.protected	_Z28segmented_warp_reduce_kernelIdhLj37ELj100EEvPKT_PT0_PS0_ ; -- Begin function _Z28segmented_warp_reduce_kernelIdhLj37ELj100EEvPKT_PT0_PS0_
	.globl	_Z28segmented_warp_reduce_kernelIdhLj37ELj100EEvPKT_PT0_PS0_
	.p2align	8
	.type	_Z28segmented_warp_reduce_kernelIdhLj37ELj100EEvPKT_PT0_PS0_,@function
_Z28segmented_warp_reduce_kernelIdhLj37ELj100EEvPKT_PT0_PS0_: ; @_Z28segmented_warp_reduce_kernelIdhLj37ELj100EEvPKT_PT0_PS0_
; %bb.0:
	s_load_dword s2, s[4:5], 0x24
	s_load_dwordx4 s[8:11], s[4:5], 0x0
	s_load_dwordx2 s[0:1], s[4:5], 0x10
	v_mov_b32_e32 v3, 0
	v_mbcnt_lo_u32_b32 v4, -1, 0
	s_waitcnt lgkmcnt(0)
	s_and_b32 s2, s2, 0xffff
	s_mul_i32 s6, s6, s2
	v_add_u32_e32 v2, s6, v0
	v_lshlrev_b64 v[0:1], 3, v[2:3]
	v_mov_b32_e32 v3, s9
	global_load_ubyte v14, v2, s[10:11]
	v_add_co_u32_e32 v2, vcc, s8, v0
	v_addc_co_u32_e32 v3, vcc, v3, v1, vcc
	global_load_dwordx2 v[2:3], v[2:3], off
	v_mbcnt_hi_u32_b32 v6, -1, v4
	s_mov_b32 s2, 0x6eb3e46
	v_mul_hi_u32 v4, v6, s2
	v_mul_u32_u24_e32 v4, 37, v4
	v_sub_u32_e32 v5, v6, v4
	v_lshlrev_b64 v[6:7], v6, -1
	v_lshlrev_b32_e32 v8, 3, v5
	v_add_u32_e32 v9, 2, v5
	v_add_u32_e32 v10, 4, v5
	;; [unrolled: 1-line block ×5, first 2 shown]
	s_movk_i32 s4, 0x64
	s_waitcnt vmcnt(1)
	v_cmp_ne_u16_e32 vcc, 0, v14
	v_cndmask_b32_e64 v14, 0, 1, vcc
	s_branch .LBB73_2
.LBB73_1:                               ;   in Loop: Header=BB73_2 Depth=1
	s_or_b64 exec, exec, s[2:3]
	s_add_i32 s4, s4, -1
	s_cmp_eq_u32 s4, 0
	; wave barrier
	s_cbranch_scc1 .LBB73_14
.LBB73_2:                               ; =>This Inner Loop Header: Depth=1
	v_cmp_ne_u32_e32 vcc, 0, v14
	s_lshr_b64 s[2:3], vcc, 1
	v_and_b32_e32 v17, s3, v7
	v_and_b32_e32 v16, s2, v6
	v_lshrrev_b64 v[16:17], v4, v[16:17]
	v_or_b32_e32 v15, 16, v17
	v_ffbl_b32_e32 v15, v15
	v_add_u32_e32 v15, 32, v15
	v_ffbl_b32_e32 v16, v16
	v_min_u32_e32 v15, v16, v15
	v_cmp_lt_u32_e32 vcc, v5, v15
	s_waitcnt vmcnt(0)
	ds_write_b64 v8, v[2:3]
	; wave barrier
	s_and_saveexec_b64 s[2:3], vcc
	s_cbranch_execz .LBB73_4
; %bb.3:                                ;   in Loop: Header=BB73_2 Depth=1
	ds_read_b64 v[16:17], v8 offset:8
	s_waitcnt lgkmcnt(0)
	v_add_f64 v[2:3], v[2:3], v[16:17]
.LBB73_4:                               ;   in Loop: Header=BB73_2 Depth=1
	s_or_b64 exec, exec, s[2:3]
	v_cmp_le_u32_e32 vcc, v9, v15
	; wave barrier
	ds_write_b64 v8, v[2:3]
	; wave barrier
	s_and_saveexec_b64 s[2:3], vcc
	s_cbranch_execz .LBB73_6
; %bb.5:                                ;   in Loop: Header=BB73_2 Depth=1
	ds_read_b64 v[16:17], v8 offset:16
	s_waitcnt lgkmcnt(0)
	v_add_f64 v[2:3], v[2:3], v[16:17]
.LBB73_6:                               ;   in Loop: Header=BB73_2 Depth=1
	s_or_b64 exec, exec, s[2:3]
	v_cmp_le_u32_e32 vcc, v10, v15
	; wave barrier
	;; [unrolled: 12-line block ×3, first 2 shown]
	ds_write_b64 v8, v[2:3]
	; wave barrier
	s_and_saveexec_b64 s[2:3], vcc
	s_cbranch_execz .LBB73_10
; %bb.9:                                ;   in Loop: Header=BB73_2 Depth=1
	ds_read_b64 v[16:17], v8 offset:64
	s_waitcnt lgkmcnt(0)
	v_add_f64 v[2:3], v[2:3], v[16:17]
.LBB73_10:                              ;   in Loop: Header=BB73_2 Depth=1
	s_or_b64 exec, exec, s[2:3]
	v_cmp_le_u32_e32 vcc, v12, v15
	; wave barrier
	ds_write_b64 v8, v[2:3]
	; wave barrier
	s_and_saveexec_b64 s[2:3], vcc
	s_cbranch_execz .LBB73_12
; %bb.11:                               ;   in Loop: Header=BB73_2 Depth=1
	ds_read_b64 v[16:17], v8 offset:128
	s_waitcnt lgkmcnt(0)
	v_add_f64 v[2:3], v[2:3], v[16:17]
.LBB73_12:                              ;   in Loop: Header=BB73_2 Depth=1
	s_or_b64 exec, exec, s[2:3]
	v_cmp_le_u32_e32 vcc, v13, v15
	; wave barrier
	ds_write_b64 v8, v[2:3]
	; wave barrier
	s_and_saveexec_b64 s[2:3], vcc
	s_cbranch_execz .LBB73_1
; %bb.13:                               ;   in Loop: Header=BB73_2 Depth=1
	ds_read_b64 v[16:17], v8 offset:256
	s_waitcnt lgkmcnt(0)
	v_add_f64 v[2:3], v[2:3], v[16:17]
	s_branch .LBB73_1
.LBB73_14:
	v_mov_b32_e32 v4, s1
	v_add_co_u32_e32 v0, vcc, s0, v0
	v_addc_co_u32_e32 v1, vcc, v4, v1, vcc
	global_store_dwordx2 v[0:1], v[2:3], off
	s_endpgm
	.section	.rodata,"a",@progbits
	.p2align	6, 0x0
	.amdhsa_kernel _Z28segmented_warp_reduce_kernelIdhLj37ELj100EEvPKT_PT0_PS0_
		.amdhsa_group_segment_fixed_size 296
		.amdhsa_private_segment_fixed_size 0
		.amdhsa_kernarg_size 280
		.amdhsa_user_sgpr_count 6
		.amdhsa_user_sgpr_private_segment_buffer 1
		.amdhsa_user_sgpr_dispatch_ptr 0
		.amdhsa_user_sgpr_queue_ptr 0
		.amdhsa_user_sgpr_kernarg_segment_ptr 1
		.amdhsa_user_sgpr_dispatch_id 0
		.amdhsa_user_sgpr_flat_scratch_init 0
		.amdhsa_user_sgpr_kernarg_preload_length 0
		.amdhsa_user_sgpr_kernarg_preload_offset 0
		.amdhsa_user_sgpr_private_segment_size 0
		.amdhsa_uses_dynamic_stack 0
		.amdhsa_system_sgpr_private_segment_wavefront_offset 0
		.amdhsa_system_sgpr_workgroup_id_x 1
		.amdhsa_system_sgpr_workgroup_id_y 0
		.amdhsa_system_sgpr_workgroup_id_z 0
		.amdhsa_system_sgpr_workgroup_info 0
		.amdhsa_system_vgpr_workitem_id 0
		.amdhsa_next_free_vgpr 18
		.amdhsa_next_free_sgpr 12
		.amdhsa_accum_offset 20
		.amdhsa_reserve_vcc 1
		.amdhsa_reserve_flat_scratch 0
		.amdhsa_float_round_mode_32 0
		.amdhsa_float_round_mode_16_64 0
		.amdhsa_float_denorm_mode_32 3
		.amdhsa_float_denorm_mode_16_64 3
		.amdhsa_dx10_clamp 1
		.amdhsa_ieee_mode 1
		.amdhsa_fp16_overflow 0
		.amdhsa_tg_split 0
		.amdhsa_exception_fp_ieee_invalid_op 0
		.amdhsa_exception_fp_denorm_src 0
		.amdhsa_exception_fp_ieee_div_zero 0
		.amdhsa_exception_fp_ieee_overflow 0
		.amdhsa_exception_fp_ieee_underflow 0
		.amdhsa_exception_fp_ieee_inexact 0
		.amdhsa_exception_int_div_zero 0
	.end_amdhsa_kernel
	.section	.text._Z28segmented_warp_reduce_kernelIdhLj37ELj100EEvPKT_PT0_PS0_,"axG",@progbits,_Z28segmented_warp_reduce_kernelIdhLj37ELj100EEvPKT_PT0_PS0_,comdat
.Lfunc_end73:
	.size	_Z28segmented_warp_reduce_kernelIdhLj37ELj100EEvPKT_PT0_PS0_, .Lfunc_end73-_Z28segmented_warp_reduce_kernelIdhLj37ELj100EEvPKT_PT0_PS0_
                                        ; -- End function
	.section	.AMDGPU.csdata,"",@progbits
; Kernel info:
; codeLenInByte = 532
; NumSgprs: 16
; NumVgprs: 18
; NumAgprs: 0
; TotalNumVgprs: 18
; ScratchSize: 0
; MemoryBound: 0
; FloatMode: 240
; IeeeMode: 1
; LDSByteSize: 296 bytes/workgroup (compile time only)
; SGPRBlocks: 1
; VGPRBlocks: 2
; NumSGPRsForWavesPerEU: 16
; NumVGPRsForWavesPerEU: 18
; AccumOffset: 20
; Occupancy: 8
; WaveLimiterHint : 0
; COMPUTE_PGM_RSRC2:SCRATCH_EN: 0
; COMPUTE_PGM_RSRC2:USER_SGPR: 6
; COMPUTE_PGM_RSRC2:TRAP_HANDLER: 0
; COMPUTE_PGM_RSRC2:TGID_X_EN: 1
; COMPUTE_PGM_RSRC2:TGID_Y_EN: 0
; COMPUTE_PGM_RSRC2:TGID_Z_EN: 0
; COMPUTE_PGM_RSRC2:TIDIG_COMP_CNT: 0
; COMPUTE_PGM_RSRC3_GFX90A:ACCUM_OFFSET: 4
; COMPUTE_PGM_RSRC3_GFX90A:TG_SPLIT: 0
	.section	.text._Z28segmented_warp_reduce_kernelIdhLj61ELj100EEvPKT_PT0_PS0_,"axG",@progbits,_Z28segmented_warp_reduce_kernelIdhLj61ELj100EEvPKT_PT0_PS0_,comdat
	.protected	_Z28segmented_warp_reduce_kernelIdhLj61ELj100EEvPKT_PT0_PS0_ ; -- Begin function _Z28segmented_warp_reduce_kernelIdhLj61ELj100EEvPKT_PT0_PS0_
	.globl	_Z28segmented_warp_reduce_kernelIdhLj61ELj100EEvPKT_PT0_PS0_
	.p2align	8
	.type	_Z28segmented_warp_reduce_kernelIdhLj61ELj100EEvPKT_PT0_PS0_,@function
_Z28segmented_warp_reduce_kernelIdhLj61ELj100EEvPKT_PT0_PS0_: ; @_Z28segmented_warp_reduce_kernelIdhLj61ELj100EEvPKT_PT0_PS0_
; %bb.0:
	s_load_dword s2, s[4:5], 0x24
	s_load_dwordx4 s[8:11], s[4:5], 0x0
	s_load_dwordx2 s[0:1], s[4:5], 0x10
	v_mov_b32_e32 v3, 0
	v_mbcnt_lo_u32_b32 v4, -1, 0
	s_waitcnt lgkmcnt(0)
	s_and_b32 s2, s2, 0xffff
	s_mul_i32 s6, s6, s2
	v_add_u32_e32 v2, s6, v0
	v_lshlrev_b64 v[0:1], 3, v[2:3]
	v_mov_b32_e32 v3, s9
	global_load_ubyte v14, v2, s[10:11]
	v_add_co_u32_e32 v2, vcc, s8, v0
	v_addc_co_u32_e32 v3, vcc, v3, v1, vcc
	global_load_dwordx2 v[2:3], v[2:3], off
	v_mbcnt_hi_u32_b32 v6, -1, v4
	s_mov_b32 s2, 0x4325c54
	v_mul_hi_u32 v4, v6, s2
	v_mul_u32_u24_e32 v4, 61, v4
	v_sub_u32_e32 v5, v6, v4
	v_lshlrev_b64 v[6:7], v6, -1
	v_lshlrev_b32_e32 v8, 3, v5
	v_add_u32_e32 v9, 2, v5
	v_add_u32_e32 v10, 4, v5
	v_add_u32_e32 v11, 8, v5
	v_add_u32_e32 v12, 16, v5
	v_add_u32_e32 v13, 32, v5
	s_movk_i32 s4, 0x64
	s_waitcnt vmcnt(1)
	v_cmp_ne_u16_e32 vcc, 0, v14
	v_cndmask_b32_e64 v14, 0, 1, vcc
	s_branch .LBB74_2
.LBB74_1:                               ;   in Loop: Header=BB74_2 Depth=1
	s_or_b64 exec, exec, s[2:3]
	s_add_i32 s4, s4, -1
	s_cmp_eq_u32 s4, 0
	; wave barrier
	s_cbranch_scc1 .LBB74_14
.LBB74_2:                               ; =>This Inner Loop Header: Depth=1
	v_cmp_ne_u32_e32 vcc, 0, v14
	s_lshr_b64 s[2:3], vcc, 1
	v_and_b32_e32 v17, s3, v7
	v_and_b32_e32 v16, s2, v6
	v_lshrrev_b64 v[16:17], v4, v[16:17]
	v_or_b32_e32 v15, 0x10000000, v17
	v_ffbl_b32_e32 v15, v15
	v_add_u32_e32 v15, 32, v15
	v_ffbl_b32_e32 v16, v16
	v_min_u32_e32 v15, v16, v15
	v_cmp_lt_u32_e32 vcc, v5, v15
	s_waitcnt vmcnt(0)
	ds_write_b64 v8, v[2:3]
	; wave barrier
	s_and_saveexec_b64 s[2:3], vcc
	s_cbranch_execz .LBB74_4
; %bb.3:                                ;   in Loop: Header=BB74_2 Depth=1
	ds_read_b64 v[16:17], v8 offset:8
	s_waitcnt lgkmcnt(0)
	v_add_f64 v[2:3], v[2:3], v[16:17]
.LBB74_4:                               ;   in Loop: Header=BB74_2 Depth=1
	s_or_b64 exec, exec, s[2:3]
	v_cmp_le_u32_e32 vcc, v9, v15
	; wave barrier
	ds_write_b64 v8, v[2:3]
	; wave barrier
	s_and_saveexec_b64 s[2:3], vcc
	s_cbranch_execz .LBB74_6
; %bb.5:                                ;   in Loop: Header=BB74_2 Depth=1
	ds_read_b64 v[16:17], v8 offset:16
	s_waitcnt lgkmcnt(0)
	v_add_f64 v[2:3], v[2:3], v[16:17]
.LBB74_6:                               ;   in Loop: Header=BB74_2 Depth=1
	s_or_b64 exec, exec, s[2:3]
	v_cmp_le_u32_e32 vcc, v10, v15
	; wave barrier
	;; [unrolled: 12-line block ×3, first 2 shown]
	ds_write_b64 v8, v[2:3]
	; wave barrier
	s_and_saveexec_b64 s[2:3], vcc
	s_cbranch_execz .LBB74_10
; %bb.9:                                ;   in Loop: Header=BB74_2 Depth=1
	ds_read_b64 v[16:17], v8 offset:64
	s_waitcnt lgkmcnt(0)
	v_add_f64 v[2:3], v[2:3], v[16:17]
.LBB74_10:                              ;   in Loop: Header=BB74_2 Depth=1
	s_or_b64 exec, exec, s[2:3]
	v_cmp_le_u32_e32 vcc, v12, v15
	; wave barrier
	ds_write_b64 v8, v[2:3]
	; wave barrier
	s_and_saveexec_b64 s[2:3], vcc
	s_cbranch_execz .LBB74_12
; %bb.11:                               ;   in Loop: Header=BB74_2 Depth=1
	ds_read_b64 v[16:17], v8 offset:128
	s_waitcnt lgkmcnt(0)
	v_add_f64 v[2:3], v[2:3], v[16:17]
.LBB74_12:                              ;   in Loop: Header=BB74_2 Depth=1
	s_or_b64 exec, exec, s[2:3]
	v_cmp_le_u32_e32 vcc, v13, v15
	; wave barrier
	ds_write_b64 v8, v[2:3]
	; wave barrier
	s_and_saveexec_b64 s[2:3], vcc
	s_cbranch_execz .LBB74_1
; %bb.13:                               ;   in Loop: Header=BB74_2 Depth=1
	ds_read_b64 v[16:17], v8 offset:256
	s_waitcnt lgkmcnt(0)
	v_add_f64 v[2:3], v[2:3], v[16:17]
	s_branch .LBB74_1
.LBB74_14:
	v_mov_b32_e32 v4, s1
	v_add_co_u32_e32 v0, vcc, s0, v0
	v_addc_co_u32_e32 v1, vcc, v4, v1, vcc
	global_store_dwordx2 v[0:1], v[2:3], off
	s_endpgm
	.section	.rodata,"a",@progbits
	.p2align	6, 0x0
	.amdhsa_kernel _Z28segmented_warp_reduce_kernelIdhLj61ELj100EEvPKT_PT0_PS0_
		.amdhsa_group_segment_fixed_size 488
		.amdhsa_private_segment_fixed_size 0
		.amdhsa_kernarg_size 280
		.amdhsa_user_sgpr_count 6
		.amdhsa_user_sgpr_private_segment_buffer 1
		.amdhsa_user_sgpr_dispatch_ptr 0
		.amdhsa_user_sgpr_queue_ptr 0
		.amdhsa_user_sgpr_kernarg_segment_ptr 1
		.amdhsa_user_sgpr_dispatch_id 0
		.amdhsa_user_sgpr_flat_scratch_init 0
		.amdhsa_user_sgpr_kernarg_preload_length 0
		.amdhsa_user_sgpr_kernarg_preload_offset 0
		.amdhsa_user_sgpr_private_segment_size 0
		.amdhsa_uses_dynamic_stack 0
		.amdhsa_system_sgpr_private_segment_wavefront_offset 0
		.amdhsa_system_sgpr_workgroup_id_x 1
		.amdhsa_system_sgpr_workgroup_id_y 0
		.amdhsa_system_sgpr_workgroup_id_z 0
		.amdhsa_system_sgpr_workgroup_info 0
		.amdhsa_system_vgpr_workitem_id 0
		.amdhsa_next_free_vgpr 18
		.amdhsa_next_free_sgpr 12
		.amdhsa_accum_offset 20
		.amdhsa_reserve_vcc 1
		.amdhsa_reserve_flat_scratch 0
		.amdhsa_float_round_mode_32 0
		.amdhsa_float_round_mode_16_64 0
		.amdhsa_float_denorm_mode_32 3
		.amdhsa_float_denorm_mode_16_64 3
		.amdhsa_dx10_clamp 1
		.amdhsa_ieee_mode 1
		.amdhsa_fp16_overflow 0
		.amdhsa_tg_split 0
		.amdhsa_exception_fp_ieee_invalid_op 0
		.amdhsa_exception_fp_denorm_src 0
		.amdhsa_exception_fp_ieee_div_zero 0
		.amdhsa_exception_fp_ieee_overflow 0
		.amdhsa_exception_fp_ieee_underflow 0
		.amdhsa_exception_fp_ieee_inexact 0
		.amdhsa_exception_int_div_zero 0
	.end_amdhsa_kernel
	.section	.text._Z28segmented_warp_reduce_kernelIdhLj61ELj100EEvPKT_PT0_PS0_,"axG",@progbits,_Z28segmented_warp_reduce_kernelIdhLj61ELj100EEvPKT_PT0_PS0_,comdat
.Lfunc_end74:
	.size	_Z28segmented_warp_reduce_kernelIdhLj61ELj100EEvPKT_PT0_PS0_, .Lfunc_end74-_Z28segmented_warp_reduce_kernelIdhLj61ELj100EEvPKT_PT0_PS0_
                                        ; -- End function
	.section	.AMDGPU.csdata,"",@progbits
; Kernel info:
; codeLenInByte = 536
; NumSgprs: 16
; NumVgprs: 18
; NumAgprs: 0
; TotalNumVgprs: 18
; ScratchSize: 0
; MemoryBound: 0
; FloatMode: 240
; IeeeMode: 1
; LDSByteSize: 488 bytes/workgroup (compile time only)
; SGPRBlocks: 1
; VGPRBlocks: 2
; NumSGPRsForWavesPerEU: 16
; NumVGPRsForWavesPerEU: 18
; AccumOffset: 20
; Occupancy: 8
; WaveLimiterHint : 0
; COMPUTE_PGM_RSRC2:SCRATCH_EN: 0
; COMPUTE_PGM_RSRC2:USER_SGPR: 6
; COMPUTE_PGM_RSRC2:TRAP_HANDLER: 0
; COMPUTE_PGM_RSRC2:TGID_X_EN: 1
; COMPUTE_PGM_RSRC2:TGID_Y_EN: 0
; COMPUTE_PGM_RSRC2:TGID_Z_EN: 0
; COMPUTE_PGM_RSRC2:TIDIG_COMP_CNT: 0
; COMPUTE_PGM_RSRC3_GFX90A:ACCUM_OFFSET: 4
; COMPUTE_PGM_RSRC3_GFX90A:TG_SPLIT: 0
	.section	.text._Z28segmented_warp_reduce_kernelIdhLj64ELj100EEvPKT_PT0_PS0_,"axG",@progbits,_Z28segmented_warp_reduce_kernelIdhLj64ELj100EEvPKT_PT0_PS0_,comdat
	.protected	_Z28segmented_warp_reduce_kernelIdhLj64ELj100EEvPKT_PT0_PS0_ ; -- Begin function _Z28segmented_warp_reduce_kernelIdhLj64ELj100EEvPKT_PT0_PS0_
	.globl	_Z28segmented_warp_reduce_kernelIdhLj64ELj100EEvPKT_PT0_PS0_
	.p2align	8
	.type	_Z28segmented_warp_reduce_kernelIdhLj64ELj100EEvPKT_PT0_PS0_,@function
_Z28segmented_warp_reduce_kernelIdhLj64ELj100EEvPKT_PT0_PS0_: ; @_Z28segmented_warp_reduce_kernelIdhLj64ELj100EEvPKT_PT0_PS0_
; %bb.0:
	s_load_dword s7, s[4:5], 0x24
	s_load_dwordx4 s[0:3], s[4:5], 0x0
	s_load_dwordx2 s[10:11], s[4:5], 0x10
	v_mov_b32_e32 v1, 0
	v_mbcnt_lo_u32_b32 v4, -1, 0
	s_waitcnt lgkmcnt(0)
	s_and_b32 s4, s7, 0xffff
	s_mul_i32 s6, s6, s4
	v_add_u32_e32 v0, s6, v0
	global_load_ubyte v12, v0, s[2:3]
	v_lshlrev_b64 v[0:1], 3, v[0:1]
	v_mov_b32_e32 v3, s1
	v_add_co_u32_e32 v2, vcc, s0, v0
	v_addc_co_u32_e32 v3, vcc, v3, v1, vcc
	global_load_dwordx2 v[2:3], v[2:3], off
	v_mbcnt_hi_u32_b32 v9, -1, v4
	v_and_b32_e32 v4, 63, v9
	v_cmp_ne_u32_e32 vcc, 63, v4
	v_addc_co_u32_e32 v5, vcc, 0, v9, vcc
	v_cmp_gt_u32_e32 vcc, 62, v4
	v_cndmask_b32_e64 v6, 0, 1, vcc
	v_cmp_gt_u32_e32 vcc, 60, v4
	v_cndmask_b32_e64 v7, 0, 1, vcc
	;; [unrolled: 2-line block ×5, first 2 shown]
	v_lshlrev_b64 v[10:11], v9, -1
	v_add_u32_e32 v13, 1, v9
	v_add_u32_e32 v14, 2, v9
	;; [unrolled: 1-line block ×6, first 2 shown]
	v_lshlrev_b32_e32 v4, 2, v5
	v_lshlrev_b32_e32 v5, 1, v6
	;; [unrolled: 1-line block ×6, first 2 shown]
	s_movk_i32 s12, 0x64
	v_add_lshl_u32 v5, v5, v9, 2
	v_add_lshl_u32 v6, v6, v9, 2
	;; [unrolled: 1-line block ×5, first 2 shown]
	s_waitcnt vmcnt(1)
	v_cmp_ne_u16_e32 vcc, 0, v12
	v_cndmask_b32_e64 v12, 0, 1, vcc
	v_cmp_ne_u32_e32 vcc, 0, v12
	s_lshr_b64 s[0:1], vcc, 1
	v_and_b32_e32 v11, s1, v11
	v_or_b32_e32 v11, 0x80000000, v11
	v_and_b32_e32 v10, s0, v10
	v_ffbl_b32_e32 v11, v11
	v_ffbl_b32_e32 v10, v10
	v_add_u32_e32 v11, 32, v11
	v_min_u32_e32 v10, v10, v11
	v_cmp_gt_u32_e32 vcc, v13, v10
	v_cmp_gt_u32_e64 s[0:1], v14, v10
	v_cmp_gt_u32_e64 s[2:3], v15, v10
	;; [unrolled: 1-line block ×5, first 2 shown]
.LBB75_1:                               ; =>This Inner Loop Header: Depth=1
	s_waitcnt vmcnt(0)
	ds_bpermute_b32 v10, v4, v2
	ds_bpermute_b32 v11, v4, v3
	s_add_i32 s12, s12, -1
	s_cmp_eq_u32 s12, 0
	s_waitcnt lgkmcnt(0)
	v_add_f64 v[10:11], v[2:3], v[10:11]
	v_cndmask_b32_e32 v2, v10, v2, vcc
	v_cndmask_b32_e32 v3, v11, v3, vcc
	ds_bpermute_b32 v10, v5, v2
	ds_bpermute_b32 v11, v5, v3
	s_waitcnt lgkmcnt(0)
	v_add_f64 v[10:11], v[2:3], v[10:11]
	v_cndmask_b32_e64 v2, v10, v2, s[0:1]
	v_cndmask_b32_e64 v3, v11, v3, s[0:1]
	ds_bpermute_b32 v10, v6, v2
	ds_bpermute_b32 v11, v6, v3
	s_waitcnt lgkmcnt(0)
	v_add_f64 v[10:11], v[2:3], v[10:11]
	v_cndmask_b32_e64 v2, v10, v2, s[2:3]
	v_cndmask_b32_e64 v3, v11, v3, s[2:3]
	;; [unrolled: 6-line block ×5, first 2 shown]
	s_cbranch_scc0 .LBB75_1
; %bb.2:
	v_mov_b32_e32 v4, s11
	v_add_co_u32_e32 v0, vcc, s10, v0
	v_addc_co_u32_e32 v1, vcc, v4, v1, vcc
	global_store_dwordx2 v[0:1], v[2:3], off
	s_endpgm
	.section	.rodata,"a",@progbits
	.p2align	6, 0x0
	.amdhsa_kernel _Z28segmented_warp_reduce_kernelIdhLj64ELj100EEvPKT_PT0_PS0_
		.amdhsa_group_segment_fixed_size 0
		.amdhsa_private_segment_fixed_size 0
		.amdhsa_kernarg_size 280
		.amdhsa_user_sgpr_count 6
		.amdhsa_user_sgpr_private_segment_buffer 1
		.amdhsa_user_sgpr_dispatch_ptr 0
		.amdhsa_user_sgpr_queue_ptr 0
		.amdhsa_user_sgpr_kernarg_segment_ptr 1
		.amdhsa_user_sgpr_dispatch_id 0
		.amdhsa_user_sgpr_flat_scratch_init 0
		.amdhsa_user_sgpr_kernarg_preload_length 0
		.amdhsa_user_sgpr_kernarg_preload_offset 0
		.amdhsa_user_sgpr_private_segment_size 0
		.amdhsa_uses_dynamic_stack 0
		.amdhsa_system_sgpr_private_segment_wavefront_offset 0
		.amdhsa_system_sgpr_workgroup_id_x 1
		.amdhsa_system_sgpr_workgroup_id_y 0
		.amdhsa_system_sgpr_workgroup_id_z 0
		.amdhsa_system_sgpr_workgroup_info 0
		.amdhsa_system_vgpr_workitem_id 0
		.amdhsa_next_free_vgpr 21
		.amdhsa_next_free_sgpr 13
		.amdhsa_accum_offset 24
		.amdhsa_reserve_vcc 1
		.amdhsa_reserve_flat_scratch 0
		.amdhsa_float_round_mode_32 0
		.amdhsa_float_round_mode_16_64 0
		.amdhsa_float_denorm_mode_32 3
		.amdhsa_float_denorm_mode_16_64 3
		.amdhsa_dx10_clamp 1
		.amdhsa_ieee_mode 1
		.amdhsa_fp16_overflow 0
		.amdhsa_tg_split 0
		.amdhsa_exception_fp_ieee_invalid_op 0
		.amdhsa_exception_fp_denorm_src 0
		.amdhsa_exception_fp_ieee_div_zero 0
		.amdhsa_exception_fp_ieee_overflow 0
		.amdhsa_exception_fp_ieee_underflow 0
		.amdhsa_exception_fp_ieee_inexact 0
		.amdhsa_exception_int_div_zero 0
	.end_amdhsa_kernel
	.section	.text._Z28segmented_warp_reduce_kernelIdhLj64ELj100EEvPKT_PT0_PS0_,"axG",@progbits,_Z28segmented_warp_reduce_kernelIdhLj64ELj100EEvPKT_PT0_PS0_,comdat
.Lfunc_end75:
	.size	_Z28segmented_warp_reduce_kernelIdhLj64ELj100EEvPKT_PT0_PS0_, .Lfunc_end75-_Z28segmented_warp_reduce_kernelIdhLj64ELj100EEvPKT_PT0_PS0_
                                        ; -- End function
	.section	.AMDGPU.csdata,"",@progbits
; Kernel info:
; codeLenInByte = 668
; NumSgprs: 17
; NumVgprs: 21
; NumAgprs: 0
; TotalNumVgprs: 21
; ScratchSize: 0
; MemoryBound: 0
; FloatMode: 240
; IeeeMode: 1
; LDSByteSize: 0 bytes/workgroup (compile time only)
; SGPRBlocks: 2
; VGPRBlocks: 2
; NumSGPRsForWavesPerEU: 17
; NumVGPRsForWavesPerEU: 21
; AccumOffset: 24
; Occupancy: 8
; WaveLimiterHint : 0
; COMPUTE_PGM_RSRC2:SCRATCH_EN: 0
; COMPUTE_PGM_RSRC2:USER_SGPR: 6
; COMPUTE_PGM_RSRC2:TRAP_HANDLER: 0
; COMPUTE_PGM_RSRC2:TGID_X_EN: 1
; COMPUTE_PGM_RSRC2:TGID_Y_EN: 0
; COMPUTE_PGM_RSRC2:TGID_Z_EN: 0
; COMPUTE_PGM_RSRC2:TIDIG_COMP_CNT: 0
; COMPUTE_PGM_RSRC3_GFX90A:ACCUM_OFFSET: 5
; COMPUTE_PGM_RSRC3_GFX90A:TG_SPLIT: 0
	.section	.text._Z28segmented_warp_reduce_kernelIahLj32ELj100EEvPKT_PT0_PS0_,"axG",@progbits,_Z28segmented_warp_reduce_kernelIahLj32ELj100EEvPKT_PT0_PS0_,comdat
	.protected	_Z28segmented_warp_reduce_kernelIahLj32ELj100EEvPKT_PT0_PS0_ ; -- Begin function _Z28segmented_warp_reduce_kernelIahLj32ELj100EEvPKT_PT0_PS0_
	.globl	_Z28segmented_warp_reduce_kernelIahLj32ELj100EEvPKT_PT0_PS0_
	.p2align	8
	.type	_Z28segmented_warp_reduce_kernelIahLj32ELj100EEvPKT_PT0_PS0_,@function
_Z28segmented_warp_reduce_kernelIahLj32ELj100EEvPKT_PT0_PS0_: ; @_Z28segmented_warp_reduce_kernelIahLj32ELj100EEvPKT_PT0_PS0_
; %bb.0:
	s_load_dword s7, s[4:5], 0x24
	s_load_dwordx4 s[0:3], s[4:5], 0x0
	s_load_dwordx2 s[8:9], s[4:5], 0x10
	v_mbcnt_lo_u32_b32 v2, -1, 0
	v_mbcnt_hi_u32_b32 v6, -1, v2
	s_waitcnt lgkmcnt(0)
	s_and_b32 s4, s7, 0xffff
	s_mul_i32 s6, s6, s4
	v_add_u32_e32 v0, s6, v0
	global_load_ubyte v7, v0, s[2:3]
	global_load_ubyte v1, v0, s[0:1]
	v_and_b32_e32 v11, 31, v6
	v_cmp_ne_u32_e32 vcc, 31, v11
	v_addc_co_u32_e32 v2, vcc, 0, v6, vcc
	v_cmp_gt_u32_e32 vcc, 30, v11
	v_cndmask_b32_e64 v3, 0, 1, vcc
	v_cmp_gt_u32_e32 vcc, 28, v11
	v_cndmask_b32_e64 v4, 0, 1, vcc
	;; [unrolled: 2-line block ×4, first 2 shown]
	v_lshlrev_b64 v[8:9], v6, -1
	v_and_b32_e32 v10, 0x60, v6
	v_add_u32_e32 v12, 2, v11
	v_add_u32_e32 v13, 4, v11
	;; [unrolled: 1-line block ×4, first 2 shown]
	v_lshlrev_b32_e32 v3, 1, v3
	v_lshlrev_b32_e32 v4, 2, v4
	;; [unrolled: 1-line block ×4, first 2 shown]
	s_movk_i32 s10, 0x64
	v_lshlrev_b32_e32 v2, 2, v2
	v_add_lshl_u32 v3, v3, v6, 2
	v_add_lshl_u32 v4, v4, v6, 2
	;; [unrolled: 1-line block ×4, first 2 shown]
	s_waitcnt vmcnt(1)
	v_cmp_ne_u16_e32 vcc, 0, v7
	v_cndmask_b32_e64 v7, 0, 1, vcc
	v_cmp_ne_u32_e32 vcc, 0, v7
	s_lshr_b64 s[0:1], vcc, 1
	v_and_b32_e32 v9, s1, v9
	v_and_b32_e32 v8, s0, v8
	v_lshrrev_b64 v[8:9], v10, v[8:9]
	v_or_b32_e32 v7, 0x80000000, v8
	v_ffbl_b32_e32 v8, v9
	v_add_u32_e32 v8, 32, v8
	v_ffbl_b32_e32 v7, v7
	v_min_u32_e32 v7, v7, v8
	v_cmp_lt_u32_e32 vcc, v11, v7
	v_cmp_gt_u32_e64 s[0:1], v12, v7
	v_cmp_gt_u32_e64 s[2:3], v13, v7
	;; [unrolled: 1-line block ×3, first 2 shown]
	v_cmp_le_u32_e64 s[6:7], v15, v7
.LBB76_1:                               ; =>This Inner Loop Header: Depth=1
	s_waitcnt vmcnt(0)
	v_and_b32_e32 v7, 0xff, v1
	ds_bpermute_b32 v8, v2, v7
	s_add_i32 s10, s10, -1
	s_cmp_eq_u32 s10, 0
	s_waitcnt lgkmcnt(0)
	v_add_u16_e32 v8, v1, v8
	v_and_b32_e32 v9, 0xff, v8
	v_cndmask_b32_e32 v7, v7, v9, vcc
	ds_bpermute_b32 v9, v3, v7
	v_cndmask_b32_e32 v8, v1, v8, vcc
	s_waitcnt lgkmcnt(0)
	v_add_u16_e32 v9, v8, v9
	v_and_b32_e32 v10, 0xff, v9
	v_cndmask_b32_e64 v7, v10, v7, s[0:1]
	ds_bpermute_b32 v10, v4, v7
	v_cndmask_b32_e64 v8, v9, v8, s[0:1]
	s_waitcnt lgkmcnt(0)
	v_add_u16_e32 v9, v8, v10
	v_and_b32_e32 v10, 0xff, v9
	v_cndmask_b32_e64 v7, v10, v7, s[2:3]
	ds_bpermute_b32 v10, v5, v7
	v_cndmask_b32_e64 v8, v9, v8, s[2:3]
	;; [unrolled: 6-line block ×3, first 2 shown]
	s_waitcnt lgkmcnt(0)
	v_cndmask_b32_e64 v7, 0, v7, s[6:7]
	v_add_u16_e32 v7, v8, v7
	v_cndmask_b32_e32 v1, v1, v7, vcc
	s_cbranch_scc0 .LBB76_1
; %bb.2:
	v_mov_b32_e32 v3, s9
	v_add_co_u32_e32 v2, vcc, s8, v0
	v_addc_co_u32_e32 v3, vcc, 0, v3, vcc
	global_store_byte v[2:3], v1, off
	s_endpgm
	.section	.rodata,"a",@progbits
	.p2align	6, 0x0
	.amdhsa_kernel _Z28segmented_warp_reduce_kernelIahLj32ELj100EEvPKT_PT0_PS0_
		.amdhsa_group_segment_fixed_size 0
		.amdhsa_private_segment_fixed_size 0
		.amdhsa_kernarg_size 280
		.amdhsa_user_sgpr_count 6
		.amdhsa_user_sgpr_private_segment_buffer 1
		.amdhsa_user_sgpr_dispatch_ptr 0
		.amdhsa_user_sgpr_queue_ptr 0
		.amdhsa_user_sgpr_kernarg_segment_ptr 1
		.amdhsa_user_sgpr_dispatch_id 0
		.amdhsa_user_sgpr_flat_scratch_init 0
		.amdhsa_user_sgpr_kernarg_preload_length 0
		.amdhsa_user_sgpr_kernarg_preload_offset 0
		.amdhsa_user_sgpr_private_segment_size 0
		.amdhsa_uses_dynamic_stack 0
		.amdhsa_system_sgpr_private_segment_wavefront_offset 0
		.amdhsa_system_sgpr_workgroup_id_x 1
		.amdhsa_system_sgpr_workgroup_id_y 0
		.amdhsa_system_sgpr_workgroup_id_z 0
		.amdhsa_system_sgpr_workgroup_info 0
		.amdhsa_system_vgpr_workitem_id 0
		.amdhsa_next_free_vgpr 17
		.amdhsa_next_free_sgpr 11
		.amdhsa_accum_offset 20
		.amdhsa_reserve_vcc 1
		.amdhsa_reserve_flat_scratch 0
		.amdhsa_float_round_mode_32 0
		.amdhsa_float_round_mode_16_64 0
		.amdhsa_float_denorm_mode_32 3
		.amdhsa_float_denorm_mode_16_64 3
		.amdhsa_dx10_clamp 1
		.amdhsa_ieee_mode 1
		.amdhsa_fp16_overflow 0
		.amdhsa_tg_split 0
		.amdhsa_exception_fp_ieee_invalid_op 0
		.amdhsa_exception_fp_denorm_src 0
		.amdhsa_exception_fp_ieee_div_zero 0
		.amdhsa_exception_fp_ieee_overflow 0
		.amdhsa_exception_fp_ieee_underflow 0
		.amdhsa_exception_fp_ieee_inexact 0
		.amdhsa_exception_int_div_zero 0
	.end_amdhsa_kernel
	.section	.text._Z28segmented_warp_reduce_kernelIahLj32ELj100EEvPKT_PT0_PS0_,"axG",@progbits,_Z28segmented_warp_reduce_kernelIahLj32ELj100EEvPKT_PT0_PS0_,comdat
.Lfunc_end76:
	.size	_Z28segmented_warp_reduce_kernelIahLj32ELj100EEvPKT_PT0_PS0_, .Lfunc_end76-_Z28segmented_warp_reduce_kernelIahLj32ELj100EEvPKT_PT0_PS0_
                                        ; -- End function
	.section	.AMDGPU.csdata,"",@progbits
; Kernel info:
; codeLenInByte = 552
; NumSgprs: 15
; NumVgprs: 17
; NumAgprs: 0
; TotalNumVgprs: 17
; ScratchSize: 0
; MemoryBound: 0
; FloatMode: 240
; IeeeMode: 1
; LDSByteSize: 0 bytes/workgroup (compile time only)
; SGPRBlocks: 1
; VGPRBlocks: 2
; NumSGPRsForWavesPerEU: 15
; NumVGPRsForWavesPerEU: 17
; AccumOffset: 20
; Occupancy: 8
; WaveLimiterHint : 0
; COMPUTE_PGM_RSRC2:SCRATCH_EN: 0
; COMPUTE_PGM_RSRC2:USER_SGPR: 6
; COMPUTE_PGM_RSRC2:TRAP_HANDLER: 0
; COMPUTE_PGM_RSRC2:TGID_X_EN: 1
; COMPUTE_PGM_RSRC2:TGID_Y_EN: 0
; COMPUTE_PGM_RSRC2:TGID_Z_EN: 0
; COMPUTE_PGM_RSRC2:TIDIG_COMP_CNT: 0
; COMPUTE_PGM_RSRC3_GFX90A:ACCUM_OFFSET: 4
; COMPUTE_PGM_RSRC3_GFX90A:TG_SPLIT: 0
	.section	.text._Z28segmented_warp_reduce_kernelIahLj37ELj100EEvPKT_PT0_PS0_,"axG",@progbits,_Z28segmented_warp_reduce_kernelIahLj37ELj100EEvPKT_PT0_PS0_,comdat
	.protected	_Z28segmented_warp_reduce_kernelIahLj37ELj100EEvPKT_PT0_PS0_ ; -- Begin function _Z28segmented_warp_reduce_kernelIahLj37ELj100EEvPKT_PT0_PS0_
	.globl	_Z28segmented_warp_reduce_kernelIahLj37ELj100EEvPKT_PT0_PS0_
	.p2align	8
	.type	_Z28segmented_warp_reduce_kernelIahLj37ELj100EEvPKT_PT0_PS0_,@function
_Z28segmented_warp_reduce_kernelIahLj37ELj100EEvPKT_PT0_PS0_: ; @_Z28segmented_warp_reduce_kernelIahLj37ELj100EEvPKT_PT0_PS0_
; %bb.0:
	s_load_dword s2, s[4:5], 0x24
	s_load_dwordx4 s[8:11], s[4:5], 0x0
	s_load_dwordx2 s[0:1], s[4:5], 0x10
	v_mbcnt_lo_u32_b32 v2, -1, 0
	v_mbcnt_hi_u32_b32 v5, -1, v2
	s_waitcnt lgkmcnt(0)
	s_and_b32 s2, s2, 0xffff
	s_mul_i32 s6, s6, s2
	v_add_u32_e32 v0, s6, v0
	global_load_ubyte v11, v0, s[10:11]
	global_load_ubyte v1, v0, s[8:9]
	s_mov_b32 s2, 0x6eb3e46
	v_mul_hi_u32 v4, v5, s2
	v_mul_u32_u24_e32 v4, 37, v4
	v_lshlrev_b64 v[2:3], v5, -1
	v_sub_u32_e32 v5, v5, v4
	s_movk_i32 s4, 0x64
	v_add_u32_e32 v6, 2, v5
	v_add_u32_e32 v7, 4, v5
	;; [unrolled: 1-line block ×5, first 2 shown]
	s_waitcnt vmcnt(1)
	v_cmp_ne_u16_e32 vcc, 0, v11
	v_cndmask_b32_e64 v11, 0, 1, vcc
	s_branch .LBB77_2
.LBB77_1:                               ;   in Loop: Header=BB77_2 Depth=1
	s_or_b64 exec, exec, s[2:3]
	s_add_i32 s4, s4, -1
	s_cmp_eq_u32 s4, 0
	; wave barrier
	s_cbranch_scc1 .LBB77_14
.LBB77_2:                               ; =>This Inner Loop Header: Depth=1
	v_cmp_ne_u32_e32 vcc, 0, v11
	s_lshr_b64 s[2:3], vcc, 1
	v_and_b32_e32 v13, s3, v3
	v_and_b32_e32 v12, s2, v2
	v_lshrrev_b64 v[12:13], v4, v[12:13]
	v_or_b32_e32 v13, 16, v13
	v_ffbl_b32_e32 v13, v13
	v_add_u32_e32 v13, 32, v13
	v_ffbl_b32_e32 v12, v12
	v_min_u32_e32 v12, v12, v13
	v_cmp_lt_u32_e32 vcc, v5, v12
	s_waitcnt vmcnt(0)
	ds_write_b8 v5, v1
	; wave barrier
	s_and_saveexec_b64 s[2:3], vcc
	s_cbranch_execz .LBB77_4
; %bb.3:                                ;   in Loop: Header=BB77_2 Depth=1
	ds_read_u8 v13, v5 offset:1
	s_waitcnt lgkmcnt(0)
	v_add_u16_e32 v1, v13, v1
.LBB77_4:                               ;   in Loop: Header=BB77_2 Depth=1
	s_or_b64 exec, exec, s[2:3]
	v_cmp_le_u32_e32 vcc, v6, v12
	; wave barrier
	ds_write_b8 v5, v1
	; wave barrier
	s_and_saveexec_b64 s[2:3], vcc
	s_cbranch_execz .LBB77_6
; %bb.5:                                ;   in Loop: Header=BB77_2 Depth=1
	ds_read_u8 v13, v5 offset:2
	s_waitcnt lgkmcnt(0)
	v_add_u16_e32 v1, v13, v1
.LBB77_6:                               ;   in Loop: Header=BB77_2 Depth=1
	s_or_b64 exec, exec, s[2:3]
	v_cmp_le_u32_e32 vcc, v7, v12
	; wave barrier
	;; [unrolled: 12-line block ×3, first 2 shown]
	ds_write_b8 v5, v1
	; wave barrier
	s_and_saveexec_b64 s[2:3], vcc
	s_cbranch_execz .LBB77_10
; %bb.9:                                ;   in Loop: Header=BB77_2 Depth=1
	ds_read_u8 v13, v5 offset:8
	s_waitcnt lgkmcnt(0)
	v_add_u16_e32 v1, v13, v1
.LBB77_10:                              ;   in Loop: Header=BB77_2 Depth=1
	s_or_b64 exec, exec, s[2:3]
	v_cmp_le_u32_e32 vcc, v9, v12
	; wave barrier
	ds_write_b8 v5, v1
	; wave barrier
	s_and_saveexec_b64 s[2:3], vcc
	s_cbranch_execz .LBB77_12
; %bb.11:                               ;   in Loop: Header=BB77_2 Depth=1
	ds_read_u8 v13, v5 offset:16
	s_waitcnt lgkmcnt(0)
	v_add_u16_e32 v1, v13, v1
.LBB77_12:                              ;   in Loop: Header=BB77_2 Depth=1
	s_or_b64 exec, exec, s[2:3]
	v_cmp_le_u32_e32 vcc, v10, v12
	; wave barrier
	ds_write_b8 v5, v1
	; wave barrier
	s_and_saveexec_b64 s[2:3], vcc
	s_cbranch_execz .LBB77_1
; %bb.13:                               ;   in Loop: Header=BB77_2 Depth=1
	ds_read_u8 v12, v5 offset:32
	s_waitcnt lgkmcnt(0)
	v_add_u16_e32 v1, v12, v1
	s_branch .LBB77_1
.LBB77_14:
	v_mov_b32_e32 v3, s1
	v_add_co_u32_e32 v2, vcc, s0, v0
	v_addc_co_u32_e32 v3, vcc, 0, v3, vcc
	global_store_byte v[2:3], v1, off
	s_endpgm
	.section	.rodata,"a",@progbits
	.p2align	6, 0x0
	.amdhsa_kernel _Z28segmented_warp_reduce_kernelIahLj37ELj100EEvPKT_PT0_PS0_
		.amdhsa_group_segment_fixed_size 37
		.amdhsa_private_segment_fixed_size 0
		.amdhsa_kernarg_size 280
		.amdhsa_user_sgpr_count 6
		.amdhsa_user_sgpr_private_segment_buffer 1
		.amdhsa_user_sgpr_dispatch_ptr 0
		.amdhsa_user_sgpr_queue_ptr 0
		.amdhsa_user_sgpr_kernarg_segment_ptr 1
		.amdhsa_user_sgpr_dispatch_id 0
		.amdhsa_user_sgpr_flat_scratch_init 0
		.amdhsa_user_sgpr_kernarg_preload_length 0
		.amdhsa_user_sgpr_kernarg_preload_offset 0
		.amdhsa_user_sgpr_private_segment_size 0
		.amdhsa_uses_dynamic_stack 0
		.amdhsa_system_sgpr_private_segment_wavefront_offset 0
		.amdhsa_system_sgpr_workgroup_id_x 1
		.amdhsa_system_sgpr_workgroup_id_y 0
		.amdhsa_system_sgpr_workgroup_id_z 0
		.amdhsa_system_sgpr_workgroup_info 0
		.amdhsa_system_vgpr_workitem_id 0
		.amdhsa_next_free_vgpr 14
		.amdhsa_next_free_sgpr 12
		.amdhsa_accum_offset 16
		.amdhsa_reserve_vcc 1
		.amdhsa_reserve_flat_scratch 0
		.amdhsa_float_round_mode_32 0
		.amdhsa_float_round_mode_16_64 0
		.amdhsa_float_denorm_mode_32 3
		.amdhsa_float_denorm_mode_16_64 3
		.amdhsa_dx10_clamp 1
		.amdhsa_ieee_mode 1
		.amdhsa_fp16_overflow 0
		.amdhsa_tg_split 0
		.amdhsa_exception_fp_ieee_invalid_op 0
		.amdhsa_exception_fp_denorm_src 0
		.amdhsa_exception_fp_ieee_div_zero 0
		.amdhsa_exception_fp_ieee_overflow 0
		.amdhsa_exception_fp_ieee_underflow 0
		.amdhsa_exception_fp_ieee_inexact 0
		.amdhsa_exception_int_div_zero 0
	.end_amdhsa_kernel
	.section	.text._Z28segmented_warp_reduce_kernelIahLj37ELj100EEvPKT_PT0_PS0_,"axG",@progbits,_Z28segmented_warp_reduce_kernelIahLj37ELj100EEvPKT_PT0_PS0_,comdat
.Lfunc_end77:
	.size	_Z28segmented_warp_reduce_kernelIahLj37ELj100EEvPKT_PT0_PS0_, .Lfunc_end77-_Z28segmented_warp_reduce_kernelIahLj37ELj100EEvPKT_PT0_PS0_
                                        ; -- End function
	.section	.AMDGPU.csdata,"",@progbits
; Kernel info:
; codeLenInByte = 480
; NumSgprs: 16
; NumVgprs: 14
; NumAgprs: 0
; TotalNumVgprs: 14
; ScratchSize: 0
; MemoryBound: 0
; FloatMode: 240
; IeeeMode: 1
; LDSByteSize: 37 bytes/workgroup (compile time only)
; SGPRBlocks: 1
; VGPRBlocks: 1
; NumSGPRsForWavesPerEU: 16
; NumVGPRsForWavesPerEU: 14
; AccumOffset: 16
; Occupancy: 8
; WaveLimiterHint : 0
; COMPUTE_PGM_RSRC2:SCRATCH_EN: 0
; COMPUTE_PGM_RSRC2:USER_SGPR: 6
; COMPUTE_PGM_RSRC2:TRAP_HANDLER: 0
; COMPUTE_PGM_RSRC2:TGID_X_EN: 1
; COMPUTE_PGM_RSRC2:TGID_Y_EN: 0
; COMPUTE_PGM_RSRC2:TGID_Z_EN: 0
; COMPUTE_PGM_RSRC2:TIDIG_COMP_CNT: 0
; COMPUTE_PGM_RSRC3_GFX90A:ACCUM_OFFSET: 3
; COMPUTE_PGM_RSRC3_GFX90A:TG_SPLIT: 0
	.section	.text._Z28segmented_warp_reduce_kernelIahLj61ELj100EEvPKT_PT0_PS0_,"axG",@progbits,_Z28segmented_warp_reduce_kernelIahLj61ELj100EEvPKT_PT0_PS0_,comdat
	.protected	_Z28segmented_warp_reduce_kernelIahLj61ELj100EEvPKT_PT0_PS0_ ; -- Begin function _Z28segmented_warp_reduce_kernelIahLj61ELj100EEvPKT_PT0_PS0_
	.globl	_Z28segmented_warp_reduce_kernelIahLj61ELj100EEvPKT_PT0_PS0_
	.p2align	8
	.type	_Z28segmented_warp_reduce_kernelIahLj61ELj100EEvPKT_PT0_PS0_,@function
_Z28segmented_warp_reduce_kernelIahLj61ELj100EEvPKT_PT0_PS0_: ; @_Z28segmented_warp_reduce_kernelIahLj61ELj100EEvPKT_PT0_PS0_
; %bb.0:
	s_load_dword s2, s[4:5], 0x24
	s_load_dwordx4 s[8:11], s[4:5], 0x0
	s_load_dwordx2 s[0:1], s[4:5], 0x10
	v_mbcnt_lo_u32_b32 v2, -1, 0
	v_mbcnt_hi_u32_b32 v5, -1, v2
	s_waitcnt lgkmcnt(0)
	s_and_b32 s2, s2, 0xffff
	s_mul_i32 s6, s6, s2
	v_add_u32_e32 v0, s6, v0
	global_load_ubyte v11, v0, s[10:11]
	global_load_ubyte v1, v0, s[8:9]
	s_mov_b32 s2, 0x4325c54
	v_mul_hi_u32 v4, v5, s2
	v_mul_u32_u24_e32 v4, 61, v4
	v_lshlrev_b64 v[2:3], v5, -1
	v_sub_u32_e32 v5, v5, v4
	s_movk_i32 s4, 0x64
	v_add_u32_e32 v6, 2, v5
	v_add_u32_e32 v7, 4, v5
	;; [unrolled: 1-line block ×5, first 2 shown]
	s_waitcnt vmcnt(1)
	v_cmp_ne_u16_e32 vcc, 0, v11
	v_cndmask_b32_e64 v11, 0, 1, vcc
	s_branch .LBB78_2
.LBB78_1:                               ;   in Loop: Header=BB78_2 Depth=1
	s_or_b64 exec, exec, s[2:3]
	s_add_i32 s4, s4, -1
	s_cmp_eq_u32 s4, 0
	; wave barrier
	s_cbranch_scc1 .LBB78_14
.LBB78_2:                               ; =>This Inner Loop Header: Depth=1
	v_cmp_ne_u32_e32 vcc, 0, v11
	s_lshr_b64 s[2:3], vcc, 1
	v_and_b32_e32 v13, s3, v3
	v_and_b32_e32 v12, s2, v2
	v_lshrrev_b64 v[12:13], v4, v[12:13]
	v_or_b32_e32 v13, 0x10000000, v13
	v_ffbl_b32_e32 v13, v13
	v_add_u32_e32 v13, 32, v13
	v_ffbl_b32_e32 v12, v12
	v_min_u32_e32 v12, v12, v13
	v_cmp_lt_u32_e32 vcc, v5, v12
	s_waitcnt vmcnt(0)
	ds_write_b8 v5, v1
	; wave barrier
	s_and_saveexec_b64 s[2:3], vcc
	s_cbranch_execz .LBB78_4
; %bb.3:                                ;   in Loop: Header=BB78_2 Depth=1
	ds_read_u8 v13, v5 offset:1
	s_waitcnt lgkmcnt(0)
	v_add_u16_e32 v1, v13, v1
.LBB78_4:                               ;   in Loop: Header=BB78_2 Depth=1
	s_or_b64 exec, exec, s[2:3]
	v_cmp_le_u32_e32 vcc, v6, v12
	; wave barrier
	ds_write_b8 v5, v1
	; wave barrier
	s_and_saveexec_b64 s[2:3], vcc
	s_cbranch_execz .LBB78_6
; %bb.5:                                ;   in Loop: Header=BB78_2 Depth=1
	ds_read_u8 v13, v5 offset:2
	s_waitcnt lgkmcnt(0)
	v_add_u16_e32 v1, v13, v1
.LBB78_6:                               ;   in Loop: Header=BB78_2 Depth=1
	s_or_b64 exec, exec, s[2:3]
	v_cmp_le_u32_e32 vcc, v7, v12
	; wave barrier
	ds_write_b8 v5, v1
	; wave barrier
	s_and_saveexec_b64 s[2:3], vcc
	s_cbranch_execz .LBB78_8
; %bb.7:                                ;   in Loop: Header=BB78_2 Depth=1
	ds_read_u8 v13, v5 offset:4
	s_waitcnt lgkmcnt(0)
	v_add_u16_e32 v1, v13, v1
.LBB78_8:                               ;   in Loop: Header=BB78_2 Depth=1
	s_or_b64 exec, exec, s[2:3]
	v_cmp_le_u32_e32 vcc, v8, v12
	; wave barrier
	ds_write_b8 v5, v1
	; wave barrier
	s_and_saveexec_b64 s[2:3], vcc
	s_cbranch_execz .LBB78_10
; %bb.9:                                ;   in Loop: Header=BB78_2 Depth=1
	ds_read_u8 v13, v5 offset:8
	s_waitcnt lgkmcnt(0)
	v_add_u16_e32 v1, v13, v1
.LBB78_10:                              ;   in Loop: Header=BB78_2 Depth=1
	s_or_b64 exec, exec, s[2:3]
	v_cmp_le_u32_e32 vcc, v9, v12
	; wave barrier
	ds_write_b8 v5, v1
	; wave barrier
	s_and_saveexec_b64 s[2:3], vcc
	s_cbranch_execz .LBB78_12
; %bb.11:                               ;   in Loop: Header=BB78_2 Depth=1
	ds_read_u8 v13, v5 offset:16
	s_waitcnt lgkmcnt(0)
	v_add_u16_e32 v1, v13, v1
.LBB78_12:                              ;   in Loop: Header=BB78_2 Depth=1
	s_or_b64 exec, exec, s[2:3]
	v_cmp_le_u32_e32 vcc, v10, v12
	; wave barrier
	ds_write_b8 v5, v1
	; wave barrier
	s_and_saveexec_b64 s[2:3], vcc
	s_cbranch_execz .LBB78_1
; %bb.13:                               ;   in Loop: Header=BB78_2 Depth=1
	ds_read_u8 v12, v5 offset:32
	s_waitcnt lgkmcnt(0)
	v_add_u16_e32 v1, v12, v1
	s_branch .LBB78_1
.LBB78_14:
	v_mov_b32_e32 v3, s1
	v_add_co_u32_e32 v2, vcc, s0, v0
	v_addc_co_u32_e32 v3, vcc, 0, v3, vcc
	global_store_byte v[2:3], v1, off
	s_endpgm
	.section	.rodata,"a",@progbits
	.p2align	6, 0x0
	.amdhsa_kernel _Z28segmented_warp_reduce_kernelIahLj61ELj100EEvPKT_PT0_PS0_
		.amdhsa_group_segment_fixed_size 61
		.amdhsa_private_segment_fixed_size 0
		.amdhsa_kernarg_size 280
		.amdhsa_user_sgpr_count 6
		.amdhsa_user_sgpr_private_segment_buffer 1
		.amdhsa_user_sgpr_dispatch_ptr 0
		.amdhsa_user_sgpr_queue_ptr 0
		.amdhsa_user_sgpr_kernarg_segment_ptr 1
		.amdhsa_user_sgpr_dispatch_id 0
		.amdhsa_user_sgpr_flat_scratch_init 0
		.amdhsa_user_sgpr_kernarg_preload_length 0
		.amdhsa_user_sgpr_kernarg_preload_offset 0
		.amdhsa_user_sgpr_private_segment_size 0
		.amdhsa_uses_dynamic_stack 0
		.amdhsa_system_sgpr_private_segment_wavefront_offset 0
		.amdhsa_system_sgpr_workgroup_id_x 1
		.amdhsa_system_sgpr_workgroup_id_y 0
		.amdhsa_system_sgpr_workgroup_id_z 0
		.amdhsa_system_sgpr_workgroup_info 0
		.amdhsa_system_vgpr_workitem_id 0
		.amdhsa_next_free_vgpr 14
		.amdhsa_next_free_sgpr 12
		.amdhsa_accum_offset 16
		.amdhsa_reserve_vcc 1
		.amdhsa_reserve_flat_scratch 0
		.amdhsa_float_round_mode_32 0
		.amdhsa_float_round_mode_16_64 0
		.amdhsa_float_denorm_mode_32 3
		.amdhsa_float_denorm_mode_16_64 3
		.amdhsa_dx10_clamp 1
		.amdhsa_ieee_mode 1
		.amdhsa_fp16_overflow 0
		.amdhsa_tg_split 0
		.amdhsa_exception_fp_ieee_invalid_op 0
		.amdhsa_exception_fp_denorm_src 0
		.amdhsa_exception_fp_ieee_div_zero 0
		.amdhsa_exception_fp_ieee_overflow 0
		.amdhsa_exception_fp_ieee_underflow 0
		.amdhsa_exception_fp_ieee_inexact 0
		.amdhsa_exception_int_div_zero 0
	.end_amdhsa_kernel
	.section	.text._Z28segmented_warp_reduce_kernelIahLj61ELj100EEvPKT_PT0_PS0_,"axG",@progbits,_Z28segmented_warp_reduce_kernelIahLj61ELj100EEvPKT_PT0_PS0_,comdat
.Lfunc_end78:
	.size	_Z28segmented_warp_reduce_kernelIahLj61ELj100EEvPKT_PT0_PS0_, .Lfunc_end78-_Z28segmented_warp_reduce_kernelIahLj61ELj100EEvPKT_PT0_PS0_
                                        ; -- End function
	.section	.AMDGPU.csdata,"",@progbits
; Kernel info:
; codeLenInByte = 484
; NumSgprs: 16
; NumVgprs: 14
; NumAgprs: 0
; TotalNumVgprs: 14
; ScratchSize: 0
; MemoryBound: 0
; FloatMode: 240
; IeeeMode: 1
; LDSByteSize: 61 bytes/workgroup (compile time only)
; SGPRBlocks: 1
; VGPRBlocks: 1
; NumSGPRsForWavesPerEU: 16
; NumVGPRsForWavesPerEU: 14
; AccumOffset: 16
; Occupancy: 8
; WaveLimiterHint : 0
; COMPUTE_PGM_RSRC2:SCRATCH_EN: 0
; COMPUTE_PGM_RSRC2:USER_SGPR: 6
; COMPUTE_PGM_RSRC2:TRAP_HANDLER: 0
; COMPUTE_PGM_RSRC2:TGID_X_EN: 1
; COMPUTE_PGM_RSRC2:TGID_Y_EN: 0
; COMPUTE_PGM_RSRC2:TGID_Z_EN: 0
; COMPUTE_PGM_RSRC2:TIDIG_COMP_CNT: 0
; COMPUTE_PGM_RSRC3_GFX90A:ACCUM_OFFSET: 3
; COMPUTE_PGM_RSRC3_GFX90A:TG_SPLIT: 0
	.section	.text._Z28segmented_warp_reduce_kernelIahLj64ELj100EEvPKT_PT0_PS0_,"axG",@progbits,_Z28segmented_warp_reduce_kernelIahLj64ELj100EEvPKT_PT0_PS0_,comdat
	.protected	_Z28segmented_warp_reduce_kernelIahLj64ELj100EEvPKT_PT0_PS0_ ; -- Begin function _Z28segmented_warp_reduce_kernelIahLj64ELj100EEvPKT_PT0_PS0_
	.globl	_Z28segmented_warp_reduce_kernelIahLj64ELj100EEvPKT_PT0_PS0_
	.p2align	8
	.type	_Z28segmented_warp_reduce_kernelIahLj64ELj100EEvPKT_PT0_PS0_,@function
_Z28segmented_warp_reduce_kernelIahLj64ELj100EEvPKT_PT0_PS0_: ; @_Z28segmented_warp_reduce_kernelIahLj64ELj100EEvPKT_PT0_PS0_
; %bb.0:
	s_load_dword s7, s[4:5], 0x24
	s_load_dwordx4 s[0:3], s[4:5], 0x0
	s_load_dwordx2 s[12:13], s[4:5], 0x10
	v_mbcnt_lo_u32_b32 v2, -1, 0
	v_mbcnt_hi_u32_b32 v7, -1, v2
	s_waitcnt lgkmcnt(0)
	s_and_b32 s4, s7, 0xffff
	s_mul_i32 s6, s6, s4
	v_add_u32_e32 v0, s6, v0
	global_load_ubyte v10, v0, s[2:3]
	global_load_ubyte v1, v0, s[0:1]
	v_and_b32_e32 v2, 63, v7
	v_cmp_ne_u32_e32 vcc, 63, v2
	v_addc_co_u32_e32 v3, vcc, 0, v7, vcc
	v_cmp_gt_u32_e32 vcc, 62, v2
	v_cndmask_b32_e64 v4, 0, 1, vcc
	v_cmp_gt_u32_e32 vcc, 60, v2
	v_cndmask_b32_e64 v5, 0, 1, vcc
	;; [unrolled: 2-line block ×5, first 2 shown]
	v_lshlrev_b64 v[8:9], v7, -1
	v_add_u32_e32 v11, 1, v7
	v_add_u32_e32 v12, 2, v7
	;; [unrolled: 1-line block ×6, first 2 shown]
	v_lshlrev_b32_e32 v2, 2, v3
	v_lshlrev_b32_e32 v3, 1, v4
	;; [unrolled: 1-line block ×6, first 2 shown]
	s_movk_i32 s14, 0x64
	v_add_lshl_u32 v3, v3, v7, 2
	v_add_lshl_u32 v4, v4, v7, 2
	v_add_lshl_u32 v5, v5, v7, 2
	v_add_lshl_u32 v6, v6, v7, 2
	v_add_lshl_u32 v7, v17, v7, 2
	s_waitcnt vmcnt(1)
	v_cmp_ne_u16_e32 vcc, 0, v10
	v_cndmask_b32_e64 v10, 0, 1, vcc
	v_cmp_ne_u32_e32 vcc, 0, v10
	s_lshr_b64 s[0:1], vcc, 1
	v_and_b32_e32 v9, s1, v9
	v_or_b32_e32 v9, 0x80000000, v9
	v_and_b32_e32 v8, s0, v8
	v_ffbl_b32_e32 v9, v9
	v_ffbl_b32_e32 v8, v8
	v_add_u32_e32 v9, 32, v9
	v_min_u32_e32 v8, v8, v9
	v_cmp_le_u32_e32 vcc, v11, v8
	v_cmp_le_u32_e64 s[0:1], v12, v8
	v_cmp_le_u32_e64 s[2:3], v13, v8
	s_or_b64 s[8:9], vcc, s[0:1]
	v_cmp_le_u32_e64 s[4:5], v14, v8
	s_or_b64 s[8:9], s[2:3], s[8:9]
	v_cmp_le_u32_e64 s[6:7], v15, v8
	s_or_b64 s[8:9], s[4:5], s[8:9]
	s_or_b64 s[10:11], s[6:7], s[8:9]
	v_cmp_le_u32_e64 s[8:9], v16, v8
	s_or_b64 s[10:11], s[8:9], s[10:11]
.LBB79_1:                               ; =>This Inner Loop Header: Depth=1
	s_waitcnt vmcnt(0)
	v_and_b32_e32 v8, 0xff, v1
	ds_bpermute_b32 v9, v2, v8
	s_add_i32 s14, s14, -1
	s_cmp_eq_u32 s14, 0
	s_waitcnt lgkmcnt(0)
	v_add_u16_e32 v9, v1, v9
	v_and_b32_e32 v10, 0xff, v9
	v_cndmask_b32_e32 v8, v8, v10, vcc
	ds_bpermute_b32 v10, v3, v8
	v_cndmask_b32_e32 v9, v1, v9, vcc
	s_waitcnt lgkmcnt(0)
	v_add_u16_e32 v10, v9, v10
	v_and_b32_e32 v11, 0xff, v10
	v_cndmask_b32_e64 v8, v8, v11, s[0:1]
	ds_bpermute_b32 v11, v4, v8
	v_cndmask_b32_e64 v9, v9, v10, s[0:1]
	s_waitcnt lgkmcnt(0)
	v_add_u16_e32 v10, v9, v11
	v_and_b32_e32 v11, 0xff, v10
	v_cndmask_b32_e64 v8, v8, v11, s[2:3]
	ds_bpermute_b32 v11, v5, v8
	v_cndmask_b32_e64 v9, v9, v10, s[2:3]
	;; [unrolled: 6-line block ×4, first 2 shown]
	s_waitcnt lgkmcnt(0)
	v_cndmask_b32_e64 v8, 0, v8, s[8:9]
	v_add_u16_e32 v8, v9, v8
	v_cndmask_b32_e64 v1, v1, v8, s[10:11]
	s_cbranch_scc0 .LBB79_1
; %bb.2:
	v_mov_b32_e32 v3, s13
	v_add_co_u32_e32 v2, vcc, s12, v0
	v_addc_co_u32_e32 v3, vcc, 0, v3, vcc
	global_store_byte v[2:3], v1, off
	s_endpgm
	.section	.rodata,"a",@progbits
	.p2align	6, 0x0
	.amdhsa_kernel _Z28segmented_warp_reduce_kernelIahLj64ELj100EEvPKT_PT0_PS0_
		.amdhsa_group_segment_fixed_size 0
		.amdhsa_private_segment_fixed_size 0
		.amdhsa_kernarg_size 280
		.amdhsa_user_sgpr_count 6
		.amdhsa_user_sgpr_private_segment_buffer 1
		.amdhsa_user_sgpr_dispatch_ptr 0
		.amdhsa_user_sgpr_queue_ptr 0
		.amdhsa_user_sgpr_kernarg_segment_ptr 1
		.amdhsa_user_sgpr_dispatch_id 0
		.amdhsa_user_sgpr_flat_scratch_init 0
		.amdhsa_user_sgpr_kernarg_preload_length 0
		.amdhsa_user_sgpr_kernarg_preload_offset 0
		.amdhsa_user_sgpr_private_segment_size 0
		.amdhsa_uses_dynamic_stack 0
		.amdhsa_system_sgpr_private_segment_wavefront_offset 0
		.amdhsa_system_sgpr_workgroup_id_x 1
		.amdhsa_system_sgpr_workgroup_id_y 0
		.amdhsa_system_sgpr_workgroup_id_z 0
		.amdhsa_system_sgpr_workgroup_info 0
		.amdhsa_system_vgpr_workitem_id 0
		.amdhsa_next_free_vgpr 19
		.amdhsa_next_free_sgpr 15
		.amdhsa_accum_offset 20
		.amdhsa_reserve_vcc 1
		.amdhsa_reserve_flat_scratch 0
		.amdhsa_float_round_mode_32 0
		.amdhsa_float_round_mode_16_64 0
		.amdhsa_float_denorm_mode_32 3
		.amdhsa_float_denorm_mode_16_64 3
		.amdhsa_dx10_clamp 1
		.amdhsa_ieee_mode 1
		.amdhsa_fp16_overflow 0
		.amdhsa_tg_split 0
		.amdhsa_exception_fp_ieee_invalid_op 0
		.amdhsa_exception_fp_denorm_src 0
		.amdhsa_exception_fp_ieee_div_zero 0
		.amdhsa_exception_fp_ieee_overflow 0
		.amdhsa_exception_fp_ieee_underflow 0
		.amdhsa_exception_fp_ieee_inexact 0
		.amdhsa_exception_int_div_zero 0
	.end_amdhsa_kernel
	.section	.text._Z28segmented_warp_reduce_kernelIahLj64ELj100EEvPKT_PT0_PS0_,"axG",@progbits,_Z28segmented_warp_reduce_kernelIahLj64ELj100EEvPKT_PT0_PS0_,comdat
.Lfunc_end79:
	.size	_Z28segmented_warp_reduce_kernelIahLj64ELj100EEvPKT_PT0_PS0_, .Lfunc_end79-_Z28segmented_warp_reduce_kernelIahLj64ELj100EEvPKT_PT0_PS0_
                                        ; -- End function
	.section	.AMDGPU.csdata,"",@progbits
; Kernel info:
; codeLenInByte = 640
; NumSgprs: 19
; NumVgprs: 19
; NumAgprs: 0
; TotalNumVgprs: 19
; ScratchSize: 0
; MemoryBound: 0
; FloatMode: 240
; IeeeMode: 1
; LDSByteSize: 0 bytes/workgroup (compile time only)
; SGPRBlocks: 2
; VGPRBlocks: 2
; NumSGPRsForWavesPerEU: 19
; NumVGPRsForWavesPerEU: 19
; AccumOffset: 20
; Occupancy: 8
; WaveLimiterHint : 0
; COMPUTE_PGM_RSRC2:SCRATCH_EN: 0
; COMPUTE_PGM_RSRC2:USER_SGPR: 6
; COMPUTE_PGM_RSRC2:TRAP_HANDLER: 0
; COMPUTE_PGM_RSRC2:TGID_X_EN: 1
; COMPUTE_PGM_RSRC2:TGID_Y_EN: 0
; COMPUTE_PGM_RSRC2:TGID_Z_EN: 0
; COMPUTE_PGM_RSRC2:TIDIG_COMP_CNT: 0
; COMPUTE_PGM_RSRC3_GFX90A:ACCUM_OFFSET: 4
; COMPUTE_PGM_RSRC3_GFX90A:TG_SPLIT: 0
	.section	.text._Z28segmented_warp_reduce_kernelIhhLj32ELj100EEvPKT_PT0_PS0_,"axG",@progbits,_Z28segmented_warp_reduce_kernelIhhLj32ELj100EEvPKT_PT0_PS0_,comdat
	.protected	_Z28segmented_warp_reduce_kernelIhhLj32ELj100EEvPKT_PT0_PS0_ ; -- Begin function _Z28segmented_warp_reduce_kernelIhhLj32ELj100EEvPKT_PT0_PS0_
	.globl	_Z28segmented_warp_reduce_kernelIhhLj32ELj100EEvPKT_PT0_PS0_
	.p2align	8
	.type	_Z28segmented_warp_reduce_kernelIhhLj32ELj100EEvPKT_PT0_PS0_,@function
_Z28segmented_warp_reduce_kernelIhhLj32ELj100EEvPKT_PT0_PS0_: ; @_Z28segmented_warp_reduce_kernelIhhLj32ELj100EEvPKT_PT0_PS0_
; %bb.0:
	s_load_dword s7, s[4:5], 0x24
	s_load_dwordx4 s[0:3], s[4:5], 0x0
	s_load_dwordx2 s[8:9], s[4:5], 0x10
	v_mbcnt_lo_u32_b32 v2, -1, 0
	v_mbcnt_hi_u32_b32 v6, -1, v2
	s_waitcnt lgkmcnt(0)
	s_and_b32 s4, s7, 0xffff
	s_mul_i32 s6, s6, s4
	v_add_u32_e32 v0, s6, v0
	global_load_ubyte v7, v0, s[2:3]
	global_load_ubyte v1, v0, s[0:1]
	v_and_b32_e32 v11, 31, v6
	v_cmp_ne_u32_e32 vcc, 31, v11
	v_addc_co_u32_e32 v2, vcc, 0, v6, vcc
	v_cmp_gt_u32_e32 vcc, 30, v11
	v_cndmask_b32_e64 v3, 0, 1, vcc
	v_cmp_gt_u32_e32 vcc, 28, v11
	v_cndmask_b32_e64 v4, 0, 1, vcc
	;; [unrolled: 2-line block ×4, first 2 shown]
	v_lshlrev_b64 v[8:9], v6, -1
	v_and_b32_e32 v10, 0x60, v6
	v_add_u32_e32 v12, 2, v11
	v_add_u32_e32 v13, 4, v11
	;; [unrolled: 1-line block ×4, first 2 shown]
	v_lshlrev_b32_e32 v3, 1, v3
	v_lshlrev_b32_e32 v4, 2, v4
	;; [unrolled: 1-line block ×4, first 2 shown]
	s_movk_i32 s10, 0x64
	v_lshlrev_b32_e32 v2, 2, v2
	v_add_lshl_u32 v3, v3, v6, 2
	v_add_lshl_u32 v4, v4, v6, 2
	;; [unrolled: 1-line block ×4, first 2 shown]
	s_waitcnt vmcnt(1)
	v_cmp_ne_u16_e32 vcc, 0, v7
	v_cndmask_b32_e64 v7, 0, 1, vcc
	v_cmp_ne_u32_e32 vcc, 0, v7
	s_lshr_b64 s[0:1], vcc, 1
	v_and_b32_e32 v9, s1, v9
	v_and_b32_e32 v8, s0, v8
	v_lshrrev_b64 v[8:9], v10, v[8:9]
	v_or_b32_e32 v7, 0x80000000, v8
	v_ffbl_b32_e32 v8, v9
	v_add_u32_e32 v8, 32, v8
	v_ffbl_b32_e32 v7, v7
	v_min_u32_e32 v7, v7, v8
	v_cmp_lt_u32_e32 vcc, v11, v7
	v_cmp_gt_u32_e64 s[0:1], v12, v7
	v_cmp_gt_u32_e64 s[2:3], v13, v7
	;; [unrolled: 1-line block ×3, first 2 shown]
	v_cmp_le_u32_e64 s[6:7], v15, v7
.LBB80_1:                               ; =>This Inner Loop Header: Depth=1
	s_waitcnt vmcnt(0)
	v_and_b32_e32 v7, 0xff, v1
	ds_bpermute_b32 v8, v2, v7
	s_add_i32 s10, s10, -1
	s_cmp_eq_u32 s10, 0
	s_waitcnt lgkmcnt(0)
	v_add_u16_e32 v8, v1, v8
	v_and_b32_e32 v9, 0xff, v8
	v_cndmask_b32_e32 v7, v7, v9, vcc
	ds_bpermute_b32 v9, v3, v7
	v_cndmask_b32_e32 v8, v1, v8, vcc
	s_waitcnt lgkmcnt(0)
	v_add_u16_e32 v9, v8, v9
	v_and_b32_e32 v10, 0xff, v9
	v_cndmask_b32_e64 v7, v10, v7, s[0:1]
	ds_bpermute_b32 v10, v4, v7
	v_cndmask_b32_e64 v8, v9, v8, s[0:1]
	s_waitcnt lgkmcnt(0)
	v_add_u16_e32 v9, v8, v10
	v_and_b32_e32 v10, 0xff, v9
	v_cndmask_b32_e64 v7, v10, v7, s[2:3]
	ds_bpermute_b32 v10, v5, v7
	v_cndmask_b32_e64 v8, v9, v8, s[2:3]
	;; [unrolled: 6-line block ×3, first 2 shown]
	s_waitcnt lgkmcnt(0)
	v_cndmask_b32_e64 v7, 0, v7, s[6:7]
	v_add_u16_e32 v7, v8, v7
	v_cndmask_b32_e32 v1, v1, v7, vcc
	s_cbranch_scc0 .LBB80_1
; %bb.2:
	v_mov_b32_e32 v3, s9
	v_add_co_u32_e32 v2, vcc, s8, v0
	v_addc_co_u32_e32 v3, vcc, 0, v3, vcc
	global_store_byte v[2:3], v1, off
	s_endpgm
	.section	.rodata,"a",@progbits
	.p2align	6, 0x0
	.amdhsa_kernel _Z28segmented_warp_reduce_kernelIhhLj32ELj100EEvPKT_PT0_PS0_
		.amdhsa_group_segment_fixed_size 0
		.amdhsa_private_segment_fixed_size 0
		.amdhsa_kernarg_size 280
		.amdhsa_user_sgpr_count 6
		.amdhsa_user_sgpr_private_segment_buffer 1
		.amdhsa_user_sgpr_dispatch_ptr 0
		.amdhsa_user_sgpr_queue_ptr 0
		.amdhsa_user_sgpr_kernarg_segment_ptr 1
		.amdhsa_user_sgpr_dispatch_id 0
		.amdhsa_user_sgpr_flat_scratch_init 0
		.amdhsa_user_sgpr_kernarg_preload_length 0
		.amdhsa_user_sgpr_kernarg_preload_offset 0
		.amdhsa_user_sgpr_private_segment_size 0
		.amdhsa_uses_dynamic_stack 0
		.amdhsa_system_sgpr_private_segment_wavefront_offset 0
		.amdhsa_system_sgpr_workgroup_id_x 1
		.amdhsa_system_sgpr_workgroup_id_y 0
		.amdhsa_system_sgpr_workgroup_id_z 0
		.amdhsa_system_sgpr_workgroup_info 0
		.amdhsa_system_vgpr_workitem_id 0
		.amdhsa_next_free_vgpr 17
		.amdhsa_next_free_sgpr 11
		.amdhsa_accum_offset 20
		.amdhsa_reserve_vcc 1
		.amdhsa_reserve_flat_scratch 0
		.amdhsa_float_round_mode_32 0
		.amdhsa_float_round_mode_16_64 0
		.amdhsa_float_denorm_mode_32 3
		.amdhsa_float_denorm_mode_16_64 3
		.amdhsa_dx10_clamp 1
		.amdhsa_ieee_mode 1
		.amdhsa_fp16_overflow 0
		.amdhsa_tg_split 0
		.amdhsa_exception_fp_ieee_invalid_op 0
		.amdhsa_exception_fp_denorm_src 0
		.amdhsa_exception_fp_ieee_div_zero 0
		.amdhsa_exception_fp_ieee_overflow 0
		.amdhsa_exception_fp_ieee_underflow 0
		.amdhsa_exception_fp_ieee_inexact 0
		.amdhsa_exception_int_div_zero 0
	.end_amdhsa_kernel
	.section	.text._Z28segmented_warp_reduce_kernelIhhLj32ELj100EEvPKT_PT0_PS0_,"axG",@progbits,_Z28segmented_warp_reduce_kernelIhhLj32ELj100EEvPKT_PT0_PS0_,comdat
.Lfunc_end80:
	.size	_Z28segmented_warp_reduce_kernelIhhLj32ELj100EEvPKT_PT0_PS0_, .Lfunc_end80-_Z28segmented_warp_reduce_kernelIhhLj32ELj100EEvPKT_PT0_PS0_
                                        ; -- End function
	.section	.AMDGPU.csdata,"",@progbits
; Kernel info:
; codeLenInByte = 552
; NumSgprs: 15
; NumVgprs: 17
; NumAgprs: 0
; TotalNumVgprs: 17
; ScratchSize: 0
; MemoryBound: 0
; FloatMode: 240
; IeeeMode: 1
; LDSByteSize: 0 bytes/workgroup (compile time only)
; SGPRBlocks: 1
; VGPRBlocks: 2
; NumSGPRsForWavesPerEU: 15
; NumVGPRsForWavesPerEU: 17
; AccumOffset: 20
; Occupancy: 8
; WaveLimiterHint : 0
; COMPUTE_PGM_RSRC2:SCRATCH_EN: 0
; COMPUTE_PGM_RSRC2:USER_SGPR: 6
; COMPUTE_PGM_RSRC2:TRAP_HANDLER: 0
; COMPUTE_PGM_RSRC2:TGID_X_EN: 1
; COMPUTE_PGM_RSRC2:TGID_Y_EN: 0
; COMPUTE_PGM_RSRC2:TGID_Z_EN: 0
; COMPUTE_PGM_RSRC2:TIDIG_COMP_CNT: 0
; COMPUTE_PGM_RSRC3_GFX90A:ACCUM_OFFSET: 4
; COMPUTE_PGM_RSRC3_GFX90A:TG_SPLIT: 0
	.section	.text._Z28segmented_warp_reduce_kernelIhhLj37ELj100EEvPKT_PT0_PS0_,"axG",@progbits,_Z28segmented_warp_reduce_kernelIhhLj37ELj100EEvPKT_PT0_PS0_,comdat
	.protected	_Z28segmented_warp_reduce_kernelIhhLj37ELj100EEvPKT_PT0_PS0_ ; -- Begin function _Z28segmented_warp_reduce_kernelIhhLj37ELj100EEvPKT_PT0_PS0_
	.globl	_Z28segmented_warp_reduce_kernelIhhLj37ELj100EEvPKT_PT0_PS0_
	.p2align	8
	.type	_Z28segmented_warp_reduce_kernelIhhLj37ELj100EEvPKT_PT0_PS0_,@function
_Z28segmented_warp_reduce_kernelIhhLj37ELj100EEvPKT_PT0_PS0_: ; @_Z28segmented_warp_reduce_kernelIhhLj37ELj100EEvPKT_PT0_PS0_
; %bb.0:
	s_load_dword s2, s[4:5], 0x24
	s_load_dwordx4 s[8:11], s[4:5], 0x0
	s_load_dwordx2 s[0:1], s[4:5], 0x10
	v_mbcnt_lo_u32_b32 v2, -1, 0
	v_mbcnt_hi_u32_b32 v5, -1, v2
	s_waitcnt lgkmcnt(0)
	s_and_b32 s2, s2, 0xffff
	s_mul_i32 s6, s6, s2
	v_add_u32_e32 v0, s6, v0
	global_load_ubyte v11, v0, s[10:11]
	global_load_ubyte v1, v0, s[8:9]
	s_mov_b32 s2, 0x6eb3e46
	v_mul_hi_u32 v4, v5, s2
	v_mul_u32_u24_e32 v4, 37, v4
	v_lshlrev_b64 v[2:3], v5, -1
	v_sub_u32_e32 v5, v5, v4
	s_movk_i32 s4, 0x64
	v_add_u32_e32 v6, 2, v5
	v_add_u32_e32 v7, 4, v5
	;; [unrolled: 1-line block ×5, first 2 shown]
	s_waitcnt vmcnt(1)
	v_cmp_ne_u16_e32 vcc, 0, v11
	v_cndmask_b32_e64 v11, 0, 1, vcc
	s_branch .LBB81_2
.LBB81_1:                               ;   in Loop: Header=BB81_2 Depth=1
	s_or_b64 exec, exec, s[2:3]
	s_add_i32 s4, s4, -1
	s_cmp_eq_u32 s4, 0
	; wave barrier
	s_cbranch_scc1 .LBB81_14
.LBB81_2:                               ; =>This Inner Loop Header: Depth=1
	v_cmp_ne_u32_e32 vcc, 0, v11
	s_lshr_b64 s[2:3], vcc, 1
	v_and_b32_e32 v13, s3, v3
	v_and_b32_e32 v12, s2, v2
	v_lshrrev_b64 v[12:13], v4, v[12:13]
	v_or_b32_e32 v13, 16, v13
	v_ffbl_b32_e32 v13, v13
	v_add_u32_e32 v13, 32, v13
	v_ffbl_b32_e32 v12, v12
	v_min_u32_e32 v12, v12, v13
	v_cmp_lt_u32_e32 vcc, v5, v12
	s_waitcnt vmcnt(0)
	ds_write_b8 v5, v1
	; wave barrier
	s_and_saveexec_b64 s[2:3], vcc
	s_cbranch_execz .LBB81_4
; %bb.3:                                ;   in Loop: Header=BB81_2 Depth=1
	ds_read_u8 v13, v5 offset:1
	s_waitcnt lgkmcnt(0)
	v_add_u16_e32 v1, v13, v1
.LBB81_4:                               ;   in Loop: Header=BB81_2 Depth=1
	s_or_b64 exec, exec, s[2:3]
	v_cmp_le_u32_e32 vcc, v6, v12
	; wave barrier
	ds_write_b8 v5, v1
	; wave barrier
	s_and_saveexec_b64 s[2:3], vcc
	s_cbranch_execz .LBB81_6
; %bb.5:                                ;   in Loop: Header=BB81_2 Depth=1
	ds_read_u8 v13, v5 offset:2
	s_waitcnt lgkmcnt(0)
	v_add_u16_e32 v1, v13, v1
.LBB81_6:                               ;   in Loop: Header=BB81_2 Depth=1
	s_or_b64 exec, exec, s[2:3]
	v_cmp_le_u32_e32 vcc, v7, v12
	; wave barrier
	;; [unrolled: 12-line block ×3, first 2 shown]
	ds_write_b8 v5, v1
	; wave barrier
	s_and_saveexec_b64 s[2:3], vcc
	s_cbranch_execz .LBB81_10
; %bb.9:                                ;   in Loop: Header=BB81_2 Depth=1
	ds_read_u8 v13, v5 offset:8
	s_waitcnt lgkmcnt(0)
	v_add_u16_e32 v1, v13, v1
.LBB81_10:                              ;   in Loop: Header=BB81_2 Depth=1
	s_or_b64 exec, exec, s[2:3]
	v_cmp_le_u32_e32 vcc, v9, v12
	; wave barrier
	ds_write_b8 v5, v1
	; wave barrier
	s_and_saveexec_b64 s[2:3], vcc
	s_cbranch_execz .LBB81_12
; %bb.11:                               ;   in Loop: Header=BB81_2 Depth=1
	ds_read_u8 v13, v5 offset:16
	s_waitcnt lgkmcnt(0)
	v_add_u16_e32 v1, v13, v1
.LBB81_12:                              ;   in Loop: Header=BB81_2 Depth=1
	s_or_b64 exec, exec, s[2:3]
	v_cmp_le_u32_e32 vcc, v10, v12
	; wave barrier
	ds_write_b8 v5, v1
	; wave barrier
	s_and_saveexec_b64 s[2:3], vcc
	s_cbranch_execz .LBB81_1
; %bb.13:                               ;   in Loop: Header=BB81_2 Depth=1
	ds_read_u8 v12, v5 offset:32
	s_waitcnt lgkmcnt(0)
	v_add_u16_e32 v1, v12, v1
	s_branch .LBB81_1
.LBB81_14:
	v_mov_b32_e32 v3, s1
	v_add_co_u32_e32 v2, vcc, s0, v0
	v_addc_co_u32_e32 v3, vcc, 0, v3, vcc
	global_store_byte v[2:3], v1, off
	s_endpgm
	.section	.rodata,"a",@progbits
	.p2align	6, 0x0
	.amdhsa_kernel _Z28segmented_warp_reduce_kernelIhhLj37ELj100EEvPKT_PT0_PS0_
		.amdhsa_group_segment_fixed_size 37
		.amdhsa_private_segment_fixed_size 0
		.amdhsa_kernarg_size 280
		.amdhsa_user_sgpr_count 6
		.amdhsa_user_sgpr_private_segment_buffer 1
		.amdhsa_user_sgpr_dispatch_ptr 0
		.amdhsa_user_sgpr_queue_ptr 0
		.amdhsa_user_sgpr_kernarg_segment_ptr 1
		.amdhsa_user_sgpr_dispatch_id 0
		.amdhsa_user_sgpr_flat_scratch_init 0
		.amdhsa_user_sgpr_kernarg_preload_length 0
		.amdhsa_user_sgpr_kernarg_preload_offset 0
		.amdhsa_user_sgpr_private_segment_size 0
		.amdhsa_uses_dynamic_stack 0
		.amdhsa_system_sgpr_private_segment_wavefront_offset 0
		.amdhsa_system_sgpr_workgroup_id_x 1
		.amdhsa_system_sgpr_workgroup_id_y 0
		.amdhsa_system_sgpr_workgroup_id_z 0
		.amdhsa_system_sgpr_workgroup_info 0
		.amdhsa_system_vgpr_workitem_id 0
		.amdhsa_next_free_vgpr 14
		.amdhsa_next_free_sgpr 12
		.amdhsa_accum_offset 16
		.amdhsa_reserve_vcc 1
		.amdhsa_reserve_flat_scratch 0
		.amdhsa_float_round_mode_32 0
		.amdhsa_float_round_mode_16_64 0
		.amdhsa_float_denorm_mode_32 3
		.amdhsa_float_denorm_mode_16_64 3
		.amdhsa_dx10_clamp 1
		.amdhsa_ieee_mode 1
		.amdhsa_fp16_overflow 0
		.amdhsa_tg_split 0
		.amdhsa_exception_fp_ieee_invalid_op 0
		.amdhsa_exception_fp_denorm_src 0
		.amdhsa_exception_fp_ieee_div_zero 0
		.amdhsa_exception_fp_ieee_overflow 0
		.amdhsa_exception_fp_ieee_underflow 0
		.amdhsa_exception_fp_ieee_inexact 0
		.amdhsa_exception_int_div_zero 0
	.end_amdhsa_kernel
	.section	.text._Z28segmented_warp_reduce_kernelIhhLj37ELj100EEvPKT_PT0_PS0_,"axG",@progbits,_Z28segmented_warp_reduce_kernelIhhLj37ELj100EEvPKT_PT0_PS0_,comdat
.Lfunc_end81:
	.size	_Z28segmented_warp_reduce_kernelIhhLj37ELj100EEvPKT_PT0_PS0_, .Lfunc_end81-_Z28segmented_warp_reduce_kernelIhhLj37ELj100EEvPKT_PT0_PS0_
                                        ; -- End function
	.section	.AMDGPU.csdata,"",@progbits
; Kernel info:
; codeLenInByte = 480
; NumSgprs: 16
; NumVgprs: 14
; NumAgprs: 0
; TotalNumVgprs: 14
; ScratchSize: 0
; MemoryBound: 0
; FloatMode: 240
; IeeeMode: 1
; LDSByteSize: 37 bytes/workgroup (compile time only)
; SGPRBlocks: 1
; VGPRBlocks: 1
; NumSGPRsForWavesPerEU: 16
; NumVGPRsForWavesPerEU: 14
; AccumOffset: 16
; Occupancy: 8
; WaveLimiterHint : 0
; COMPUTE_PGM_RSRC2:SCRATCH_EN: 0
; COMPUTE_PGM_RSRC2:USER_SGPR: 6
; COMPUTE_PGM_RSRC2:TRAP_HANDLER: 0
; COMPUTE_PGM_RSRC2:TGID_X_EN: 1
; COMPUTE_PGM_RSRC2:TGID_Y_EN: 0
; COMPUTE_PGM_RSRC2:TGID_Z_EN: 0
; COMPUTE_PGM_RSRC2:TIDIG_COMP_CNT: 0
; COMPUTE_PGM_RSRC3_GFX90A:ACCUM_OFFSET: 3
; COMPUTE_PGM_RSRC3_GFX90A:TG_SPLIT: 0
	.section	.text._Z28segmented_warp_reduce_kernelIhhLj61ELj100EEvPKT_PT0_PS0_,"axG",@progbits,_Z28segmented_warp_reduce_kernelIhhLj61ELj100EEvPKT_PT0_PS0_,comdat
	.protected	_Z28segmented_warp_reduce_kernelIhhLj61ELj100EEvPKT_PT0_PS0_ ; -- Begin function _Z28segmented_warp_reduce_kernelIhhLj61ELj100EEvPKT_PT0_PS0_
	.globl	_Z28segmented_warp_reduce_kernelIhhLj61ELj100EEvPKT_PT0_PS0_
	.p2align	8
	.type	_Z28segmented_warp_reduce_kernelIhhLj61ELj100EEvPKT_PT0_PS0_,@function
_Z28segmented_warp_reduce_kernelIhhLj61ELj100EEvPKT_PT0_PS0_: ; @_Z28segmented_warp_reduce_kernelIhhLj61ELj100EEvPKT_PT0_PS0_
; %bb.0:
	s_load_dword s2, s[4:5], 0x24
	s_load_dwordx4 s[8:11], s[4:5], 0x0
	s_load_dwordx2 s[0:1], s[4:5], 0x10
	v_mbcnt_lo_u32_b32 v2, -1, 0
	v_mbcnt_hi_u32_b32 v5, -1, v2
	s_waitcnt lgkmcnt(0)
	s_and_b32 s2, s2, 0xffff
	s_mul_i32 s6, s6, s2
	v_add_u32_e32 v0, s6, v0
	global_load_ubyte v11, v0, s[10:11]
	global_load_ubyte v1, v0, s[8:9]
	s_mov_b32 s2, 0x4325c54
	v_mul_hi_u32 v4, v5, s2
	v_mul_u32_u24_e32 v4, 61, v4
	v_lshlrev_b64 v[2:3], v5, -1
	v_sub_u32_e32 v5, v5, v4
	s_movk_i32 s4, 0x64
	v_add_u32_e32 v6, 2, v5
	v_add_u32_e32 v7, 4, v5
	v_add_u32_e32 v8, 8, v5
	v_add_u32_e32 v9, 16, v5
	v_add_u32_e32 v10, 32, v5
	s_waitcnt vmcnt(1)
	v_cmp_ne_u16_e32 vcc, 0, v11
	v_cndmask_b32_e64 v11, 0, 1, vcc
	s_branch .LBB82_2
.LBB82_1:                               ;   in Loop: Header=BB82_2 Depth=1
	s_or_b64 exec, exec, s[2:3]
	s_add_i32 s4, s4, -1
	s_cmp_eq_u32 s4, 0
	; wave barrier
	s_cbranch_scc1 .LBB82_14
.LBB82_2:                               ; =>This Inner Loop Header: Depth=1
	v_cmp_ne_u32_e32 vcc, 0, v11
	s_lshr_b64 s[2:3], vcc, 1
	v_and_b32_e32 v13, s3, v3
	v_and_b32_e32 v12, s2, v2
	v_lshrrev_b64 v[12:13], v4, v[12:13]
	v_or_b32_e32 v13, 0x10000000, v13
	v_ffbl_b32_e32 v13, v13
	v_add_u32_e32 v13, 32, v13
	v_ffbl_b32_e32 v12, v12
	v_min_u32_e32 v12, v12, v13
	v_cmp_lt_u32_e32 vcc, v5, v12
	s_waitcnt vmcnt(0)
	ds_write_b8 v5, v1
	; wave barrier
	s_and_saveexec_b64 s[2:3], vcc
	s_cbranch_execz .LBB82_4
; %bb.3:                                ;   in Loop: Header=BB82_2 Depth=1
	ds_read_u8 v13, v5 offset:1
	s_waitcnt lgkmcnt(0)
	v_add_u16_e32 v1, v13, v1
.LBB82_4:                               ;   in Loop: Header=BB82_2 Depth=1
	s_or_b64 exec, exec, s[2:3]
	v_cmp_le_u32_e32 vcc, v6, v12
	; wave barrier
	ds_write_b8 v5, v1
	; wave barrier
	s_and_saveexec_b64 s[2:3], vcc
	s_cbranch_execz .LBB82_6
; %bb.5:                                ;   in Loop: Header=BB82_2 Depth=1
	ds_read_u8 v13, v5 offset:2
	s_waitcnt lgkmcnt(0)
	v_add_u16_e32 v1, v13, v1
.LBB82_6:                               ;   in Loop: Header=BB82_2 Depth=1
	s_or_b64 exec, exec, s[2:3]
	v_cmp_le_u32_e32 vcc, v7, v12
	; wave barrier
	;; [unrolled: 12-line block ×3, first 2 shown]
	ds_write_b8 v5, v1
	; wave barrier
	s_and_saveexec_b64 s[2:3], vcc
	s_cbranch_execz .LBB82_10
; %bb.9:                                ;   in Loop: Header=BB82_2 Depth=1
	ds_read_u8 v13, v5 offset:8
	s_waitcnt lgkmcnt(0)
	v_add_u16_e32 v1, v13, v1
.LBB82_10:                              ;   in Loop: Header=BB82_2 Depth=1
	s_or_b64 exec, exec, s[2:3]
	v_cmp_le_u32_e32 vcc, v9, v12
	; wave barrier
	ds_write_b8 v5, v1
	; wave barrier
	s_and_saveexec_b64 s[2:3], vcc
	s_cbranch_execz .LBB82_12
; %bb.11:                               ;   in Loop: Header=BB82_2 Depth=1
	ds_read_u8 v13, v5 offset:16
	s_waitcnt lgkmcnt(0)
	v_add_u16_e32 v1, v13, v1
.LBB82_12:                              ;   in Loop: Header=BB82_2 Depth=1
	s_or_b64 exec, exec, s[2:3]
	v_cmp_le_u32_e32 vcc, v10, v12
	; wave barrier
	ds_write_b8 v5, v1
	; wave barrier
	s_and_saveexec_b64 s[2:3], vcc
	s_cbranch_execz .LBB82_1
; %bb.13:                               ;   in Loop: Header=BB82_2 Depth=1
	ds_read_u8 v12, v5 offset:32
	s_waitcnt lgkmcnt(0)
	v_add_u16_e32 v1, v12, v1
	s_branch .LBB82_1
.LBB82_14:
	v_mov_b32_e32 v3, s1
	v_add_co_u32_e32 v2, vcc, s0, v0
	v_addc_co_u32_e32 v3, vcc, 0, v3, vcc
	global_store_byte v[2:3], v1, off
	s_endpgm
	.section	.rodata,"a",@progbits
	.p2align	6, 0x0
	.amdhsa_kernel _Z28segmented_warp_reduce_kernelIhhLj61ELj100EEvPKT_PT0_PS0_
		.amdhsa_group_segment_fixed_size 61
		.amdhsa_private_segment_fixed_size 0
		.amdhsa_kernarg_size 280
		.amdhsa_user_sgpr_count 6
		.amdhsa_user_sgpr_private_segment_buffer 1
		.amdhsa_user_sgpr_dispatch_ptr 0
		.amdhsa_user_sgpr_queue_ptr 0
		.amdhsa_user_sgpr_kernarg_segment_ptr 1
		.amdhsa_user_sgpr_dispatch_id 0
		.amdhsa_user_sgpr_flat_scratch_init 0
		.amdhsa_user_sgpr_kernarg_preload_length 0
		.amdhsa_user_sgpr_kernarg_preload_offset 0
		.amdhsa_user_sgpr_private_segment_size 0
		.amdhsa_uses_dynamic_stack 0
		.amdhsa_system_sgpr_private_segment_wavefront_offset 0
		.amdhsa_system_sgpr_workgroup_id_x 1
		.amdhsa_system_sgpr_workgroup_id_y 0
		.amdhsa_system_sgpr_workgroup_id_z 0
		.amdhsa_system_sgpr_workgroup_info 0
		.amdhsa_system_vgpr_workitem_id 0
		.amdhsa_next_free_vgpr 14
		.amdhsa_next_free_sgpr 12
		.amdhsa_accum_offset 16
		.amdhsa_reserve_vcc 1
		.amdhsa_reserve_flat_scratch 0
		.amdhsa_float_round_mode_32 0
		.amdhsa_float_round_mode_16_64 0
		.amdhsa_float_denorm_mode_32 3
		.amdhsa_float_denorm_mode_16_64 3
		.amdhsa_dx10_clamp 1
		.amdhsa_ieee_mode 1
		.amdhsa_fp16_overflow 0
		.amdhsa_tg_split 0
		.amdhsa_exception_fp_ieee_invalid_op 0
		.amdhsa_exception_fp_denorm_src 0
		.amdhsa_exception_fp_ieee_div_zero 0
		.amdhsa_exception_fp_ieee_overflow 0
		.amdhsa_exception_fp_ieee_underflow 0
		.amdhsa_exception_fp_ieee_inexact 0
		.amdhsa_exception_int_div_zero 0
	.end_amdhsa_kernel
	.section	.text._Z28segmented_warp_reduce_kernelIhhLj61ELj100EEvPKT_PT0_PS0_,"axG",@progbits,_Z28segmented_warp_reduce_kernelIhhLj61ELj100EEvPKT_PT0_PS0_,comdat
.Lfunc_end82:
	.size	_Z28segmented_warp_reduce_kernelIhhLj61ELj100EEvPKT_PT0_PS0_, .Lfunc_end82-_Z28segmented_warp_reduce_kernelIhhLj61ELj100EEvPKT_PT0_PS0_
                                        ; -- End function
	.section	.AMDGPU.csdata,"",@progbits
; Kernel info:
; codeLenInByte = 484
; NumSgprs: 16
; NumVgprs: 14
; NumAgprs: 0
; TotalNumVgprs: 14
; ScratchSize: 0
; MemoryBound: 0
; FloatMode: 240
; IeeeMode: 1
; LDSByteSize: 61 bytes/workgroup (compile time only)
; SGPRBlocks: 1
; VGPRBlocks: 1
; NumSGPRsForWavesPerEU: 16
; NumVGPRsForWavesPerEU: 14
; AccumOffset: 16
; Occupancy: 8
; WaveLimiterHint : 0
; COMPUTE_PGM_RSRC2:SCRATCH_EN: 0
; COMPUTE_PGM_RSRC2:USER_SGPR: 6
; COMPUTE_PGM_RSRC2:TRAP_HANDLER: 0
; COMPUTE_PGM_RSRC2:TGID_X_EN: 1
; COMPUTE_PGM_RSRC2:TGID_Y_EN: 0
; COMPUTE_PGM_RSRC2:TGID_Z_EN: 0
; COMPUTE_PGM_RSRC2:TIDIG_COMP_CNT: 0
; COMPUTE_PGM_RSRC3_GFX90A:ACCUM_OFFSET: 3
; COMPUTE_PGM_RSRC3_GFX90A:TG_SPLIT: 0
	.section	.text._Z28segmented_warp_reduce_kernelIhhLj64ELj100EEvPKT_PT0_PS0_,"axG",@progbits,_Z28segmented_warp_reduce_kernelIhhLj64ELj100EEvPKT_PT0_PS0_,comdat
	.protected	_Z28segmented_warp_reduce_kernelIhhLj64ELj100EEvPKT_PT0_PS0_ ; -- Begin function _Z28segmented_warp_reduce_kernelIhhLj64ELj100EEvPKT_PT0_PS0_
	.globl	_Z28segmented_warp_reduce_kernelIhhLj64ELj100EEvPKT_PT0_PS0_
	.p2align	8
	.type	_Z28segmented_warp_reduce_kernelIhhLj64ELj100EEvPKT_PT0_PS0_,@function
_Z28segmented_warp_reduce_kernelIhhLj64ELj100EEvPKT_PT0_PS0_: ; @_Z28segmented_warp_reduce_kernelIhhLj64ELj100EEvPKT_PT0_PS0_
; %bb.0:
	s_load_dword s7, s[4:5], 0x24
	s_load_dwordx4 s[0:3], s[4:5], 0x0
	s_load_dwordx2 s[12:13], s[4:5], 0x10
	v_mbcnt_lo_u32_b32 v2, -1, 0
	v_mbcnt_hi_u32_b32 v7, -1, v2
	s_waitcnt lgkmcnt(0)
	s_and_b32 s4, s7, 0xffff
	s_mul_i32 s6, s6, s4
	v_add_u32_e32 v0, s6, v0
	global_load_ubyte v10, v0, s[2:3]
	global_load_ubyte v1, v0, s[0:1]
	v_and_b32_e32 v2, 63, v7
	v_cmp_ne_u32_e32 vcc, 63, v2
	v_addc_co_u32_e32 v3, vcc, 0, v7, vcc
	v_cmp_gt_u32_e32 vcc, 62, v2
	v_cndmask_b32_e64 v4, 0, 1, vcc
	v_cmp_gt_u32_e32 vcc, 60, v2
	v_cndmask_b32_e64 v5, 0, 1, vcc
	;; [unrolled: 2-line block ×5, first 2 shown]
	v_lshlrev_b64 v[8:9], v7, -1
	v_add_u32_e32 v11, 1, v7
	v_add_u32_e32 v12, 2, v7
	;; [unrolled: 1-line block ×6, first 2 shown]
	v_lshlrev_b32_e32 v2, 2, v3
	v_lshlrev_b32_e32 v3, 1, v4
	;; [unrolled: 1-line block ×6, first 2 shown]
	s_movk_i32 s14, 0x64
	v_add_lshl_u32 v3, v3, v7, 2
	v_add_lshl_u32 v4, v4, v7, 2
	;; [unrolled: 1-line block ×5, first 2 shown]
	s_waitcnt vmcnt(1)
	v_cmp_ne_u16_e32 vcc, 0, v10
	v_cndmask_b32_e64 v10, 0, 1, vcc
	v_cmp_ne_u32_e32 vcc, 0, v10
	s_lshr_b64 s[0:1], vcc, 1
	v_and_b32_e32 v9, s1, v9
	v_or_b32_e32 v9, 0x80000000, v9
	v_and_b32_e32 v8, s0, v8
	v_ffbl_b32_e32 v9, v9
	v_ffbl_b32_e32 v8, v8
	v_add_u32_e32 v9, 32, v9
	v_min_u32_e32 v8, v8, v9
	v_cmp_le_u32_e32 vcc, v11, v8
	v_cmp_le_u32_e64 s[0:1], v12, v8
	v_cmp_le_u32_e64 s[2:3], v13, v8
	s_or_b64 s[8:9], vcc, s[0:1]
	v_cmp_le_u32_e64 s[4:5], v14, v8
	s_or_b64 s[8:9], s[2:3], s[8:9]
	v_cmp_le_u32_e64 s[6:7], v15, v8
	s_or_b64 s[8:9], s[4:5], s[8:9]
	s_or_b64 s[10:11], s[6:7], s[8:9]
	v_cmp_le_u32_e64 s[8:9], v16, v8
	s_or_b64 s[10:11], s[8:9], s[10:11]
.LBB83_1:                               ; =>This Inner Loop Header: Depth=1
	s_waitcnt vmcnt(0)
	v_and_b32_e32 v8, 0xff, v1
	ds_bpermute_b32 v9, v2, v8
	s_add_i32 s14, s14, -1
	s_cmp_eq_u32 s14, 0
	s_waitcnt lgkmcnt(0)
	v_add_u16_e32 v9, v1, v9
	v_and_b32_e32 v10, 0xff, v9
	v_cndmask_b32_e32 v8, v8, v10, vcc
	ds_bpermute_b32 v10, v3, v8
	v_cndmask_b32_e32 v9, v1, v9, vcc
	s_waitcnt lgkmcnt(0)
	v_add_u16_e32 v10, v9, v10
	v_and_b32_e32 v11, 0xff, v10
	v_cndmask_b32_e64 v8, v8, v11, s[0:1]
	ds_bpermute_b32 v11, v4, v8
	v_cndmask_b32_e64 v9, v9, v10, s[0:1]
	s_waitcnt lgkmcnt(0)
	v_add_u16_e32 v10, v9, v11
	v_and_b32_e32 v11, 0xff, v10
	v_cndmask_b32_e64 v8, v8, v11, s[2:3]
	ds_bpermute_b32 v11, v5, v8
	v_cndmask_b32_e64 v9, v9, v10, s[2:3]
	;; [unrolled: 6-line block ×4, first 2 shown]
	s_waitcnt lgkmcnt(0)
	v_cndmask_b32_e64 v8, 0, v8, s[8:9]
	v_add_u16_e32 v8, v9, v8
	v_cndmask_b32_e64 v1, v1, v8, s[10:11]
	s_cbranch_scc0 .LBB83_1
; %bb.2:
	v_mov_b32_e32 v3, s13
	v_add_co_u32_e32 v2, vcc, s12, v0
	v_addc_co_u32_e32 v3, vcc, 0, v3, vcc
	global_store_byte v[2:3], v1, off
	s_endpgm
	.section	.rodata,"a",@progbits
	.p2align	6, 0x0
	.amdhsa_kernel _Z28segmented_warp_reduce_kernelIhhLj64ELj100EEvPKT_PT0_PS0_
		.amdhsa_group_segment_fixed_size 0
		.amdhsa_private_segment_fixed_size 0
		.amdhsa_kernarg_size 280
		.amdhsa_user_sgpr_count 6
		.amdhsa_user_sgpr_private_segment_buffer 1
		.amdhsa_user_sgpr_dispatch_ptr 0
		.amdhsa_user_sgpr_queue_ptr 0
		.amdhsa_user_sgpr_kernarg_segment_ptr 1
		.amdhsa_user_sgpr_dispatch_id 0
		.amdhsa_user_sgpr_flat_scratch_init 0
		.amdhsa_user_sgpr_kernarg_preload_length 0
		.amdhsa_user_sgpr_kernarg_preload_offset 0
		.amdhsa_user_sgpr_private_segment_size 0
		.amdhsa_uses_dynamic_stack 0
		.amdhsa_system_sgpr_private_segment_wavefront_offset 0
		.amdhsa_system_sgpr_workgroup_id_x 1
		.amdhsa_system_sgpr_workgroup_id_y 0
		.amdhsa_system_sgpr_workgroup_id_z 0
		.amdhsa_system_sgpr_workgroup_info 0
		.amdhsa_system_vgpr_workitem_id 0
		.amdhsa_next_free_vgpr 19
		.amdhsa_next_free_sgpr 15
		.amdhsa_accum_offset 20
		.amdhsa_reserve_vcc 1
		.amdhsa_reserve_flat_scratch 0
		.amdhsa_float_round_mode_32 0
		.amdhsa_float_round_mode_16_64 0
		.amdhsa_float_denorm_mode_32 3
		.amdhsa_float_denorm_mode_16_64 3
		.amdhsa_dx10_clamp 1
		.amdhsa_ieee_mode 1
		.amdhsa_fp16_overflow 0
		.amdhsa_tg_split 0
		.amdhsa_exception_fp_ieee_invalid_op 0
		.amdhsa_exception_fp_denorm_src 0
		.amdhsa_exception_fp_ieee_div_zero 0
		.amdhsa_exception_fp_ieee_overflow 0
		.amdhsa_exception_fp_ieee_underflow 0
		.amdhsa_exception_fp_ieee_inexact 0
		.amdhsa_exception_int_div_zero 0
	.end_amdhsa_kernel
	.section	.text._Z28segmented_warp_reduce_kernelIhhLj64ELj100EEvPKT_PT0_PS0_,"axG",@progbits,_Z28segmented_warp_reduce_kernelIhhLj64ELj100EEvPKT_PT0_PS0_,comdat
.Lfunc_end83:
	.size	_Z28segmented_warp_reduce_kernelIhhLj64ELj100EEvPKT_PT0_PS0_, .Lfunc_end83-_Z28segmented_warp_reduce_kernelIhhLj64ELj100EEvPKT_PT0_PS0_
                                        ; -- End function
	.section	.AMDGPU.csdata,"",@progbits
; Kernel info:
; codeLenInByte = 640
; NumSgprs: 19
; NumVgprs: 19
; NumAgprs: 0
; TotalNumVgprs: 19
; ScratchSize: 0
; MemoryBound: 0
; FloatMode: 240
; IeeeMode: 1
; LDSByteSize: 0 bytes/workgroup (compile time only)
; SGPRBlocks: 2
; VGPRBlocks: 2
; NumSGPRsForWavesPerEU: 19
; NumVGPRsForWavesPerEU: 19
; AccumOffset: 20
; Occupancy: 8
; WaveLimiterHint : 0
; COMPUTE_PGM_RSRC2:SCRATCH_EN: 0
; COMPUTE_PGM_RSRC2:USER_SGPR: 6
; COMPUTE_PGM_RSRC2:TRAP_HANDLER: 0
; COMPUTE_PGM_RSRC2:TGID_X_EN: 1
; COMPUTE_PGM_RSRC2:TGID_Y_EN: 0
; COMPUTE_PGM_RSRC2:TGID_Z_EN: 0
; COMPUTE_PGM_RSRC2:TIDIG_COMP_CNT: 0
; COMPUTE_PGM_RSRC3_GFX90A:ACCUM_OFFSET: 4
; COMPUTE_PGM_RSRC3_GFX90A:TG_SPLIT: 0
	.section	.text._Z28segmented_warp_reduce_kernelI6__halfhLj32ELj100EEvPKT_PT0_PS1_,"axG",@progbits,_Z28segmented_warp_reduce_kernelI6__halfhLj32ELj100EEvPKT_PT0_PS1_,comdat
	.protected	_Z28segmented_warp_reduce_kernelI6__halfhLj32ELj100EEvPKT_PT0_PS1_ ; -- Begin function _Z28segmented_warp_reduce_kernelI6__halfhLj32ELj100EEvPKT_PT0_PS1_
	.globl	_Z28segmented_warp_reduce_kernelI6__halfhLj32ELj100EEvPKT_PT0_PS1_
	.p2align	8
	.type	_Z28segmented_warp_reduce_kernelI6__halfhLj32ELj100EEvPKT_PT0_PS1_,@function
_Z28segmented_warp_reduce_kernelI6__halfhLj32ELj100EEvPKT_PT0_PS1_: ; @_Z28segmented_warp_reduce_kernelI6__halfhLj32ELj100EEvPKT_PT0_PS1_
; %bb.0:
	s_load_dword s7, s[4:5], 0x24
	s_load_dwordx4 s[0:3], s[4:5], 0x0
	s_load_dwordx2 s[8:9], s[4:5], 0x10
	v_mov_b32_e32 v3, 0
	s_movk_i32 s10, 0x64
	s_waitcnt lgkmcnt(0)
	s_and_b32 s4, s7, 0xffff
	s_mul_i32 s6, s6, s4
	v_add_u32_e32 v2, s6, v0
	v_lshlrev_b64 v[0:1], 1, v[2:3]
	v_mov_b32_e32 v3, s1
	global_load_ubyte v16, v2, s[2:3]
	v_add_co_u32_e32 v2, vcc, s0, v0
	v_addc_co_u32_e32 v3, vcc, v3, v1, vcc
	global_load_ushort v5, v[2:3], off
	v_mbcnt_lo_u32_b32 v2, -1, 0
	v_mbcnt_hi_u32_b32 v14, -1, v2
	v_and_b32_e32 v6, 31, v14
	v_cmp_ne_u32_e32 vcc, 31, v6
	v_addc_co_u32_e32 v7, vcc, 0, v14, vcc
	v_cmp_gt_u32_e32 vcc, 30, v6
	v_cndmask_b32_e64 v9, 0, 1, vcc
	v_cmp_gt_u32_e32 vcc, 28, v6
	v_cndmask_b32_e64 v11, 0, 1, vcc
	;; [unrolled: 2-line block ×4, first 2 shown]
	v_lshlrev_b32_e32 v9, 1, v9
	v_lshlrev_b32_e32 v11, 2, v11
	;; [unrolled: 1-line block ×4, first 2 shown]
	v_lshlrev_b64 v[2:3], v14, -1
	v_and_b32_e32 v4, 0x60, v14
	v_lshlrev_b32_e32 v7, 2, v7
	v_add_u32_e32 v8, 2, v6
	v_add_lshl_u32 v9, v9, v14, 2
	v_add_u32_e32 v10, 4, v6
	v_add_lshl_u32 v11, v11, v14, 2
	;; [unrolled: 2-line block ×3, first 2 shown]
	v_add_lshl_u32 v14, v15, v14, 2
	v_add_u32_e32 v15, 16, v6
	s_waitcnt vmcnt(1)
	v_cmp_ne_u16_e32 vcc, 0, v16
	v_cndmask_b32_e64 v16, 0, 1, vcc
	s_branch .LBB84_2
.LBB84_1:                               ;   in Loop: Header=BB84_2 Depth=1
	s_or_b64 exec, exec, s[6:7]
	s_add_i32 s10, s10, -1
	s_cmp_eq_u32 s10, 0
	s_cbranch_scc1 .LBB84_4
.LBB84_2:                               ; =>This Inner Loop Header: Depth=1
	v_cmp_ne_u32_e32 vcc, 0, v16
	s_lshr_b64 s[0:1], vcc, 1
	v_and_b32_e32 v19, s1, v3
	v_and_b32_e32 v18, s0, v2
	v_lshrrev_b64 v[18:19], v4, v[18:19]
	s_waitcnt vmcnt(0)
	v_and_b32_e32 v20, 0xffff, v5
	v_or_b32_e32 v17, 0x80000000, v18
	ds_bpermute_b32 v18, v7, v20
	v_ffbl_b32_e32 v19, v19
	v_add_u32_e32 v19, 32, v19
	v_ffbl_b32_e32 v17, v17
	v_min_u32_e32 v17, v17, v19
	s_waitcnt lgkmcnt(0)
	v_add_f16_e32 v18, v5, v18
	v_cmp_lt_u32_e64 s[4:5], v6, v17
	v_cndmask_b32_e64 v20, v20, v18, s[4:5]
	ds_bpermute_b32 v19, v9, v20
	v_cndmask_b32_e64 v21, v5, v18, s[4:5]
	v_cmp_gt_u32_e32 vcc, v8, v17
	v_cmp_gt_u32_e64 s[0:1], v10, v17
	v_cmp_gt_u32_e64 s[2:3], v12, v17
	s_waitcnt lgkmcnt(0)
	v_add_f16_e32 v19, v19, v21
	v_cndmask_b32_e32 v22, v19, v20, vcc
	ds_bpermute_b32 v20, v11, v22
	v_cndmask_b32_e32 v21, v19, v21, vcc
	s_waitcnt lgkmcnt(0)
	v_add_f16_e32 v20, v20, v21
	v_cndmask_b32_e64 v23, v20, v22, s[0:1]
	ds_bpermute_b32 v22, v13, v23
	v_cndmask_b32_e64 v21, v20, v21, s[0:1]
	s_waitcnt lgkmcnt(0)
	v_add_f16_e32 v22, v22, v21
	v_cndmask_b32_e64 v23, v22, v23, s[2:3]
	ds_bpermute_b32 v23, v14, v23
	s_and_saveexec_b64 s[6:7], s[4:5]
	s_cbranch_execz .LBB84_1
; %bb.3:                                ;   in Loop: Header=BB84_2 Depth=1
	v_cndmask_b32_e32 v5, v19, v18, vcc
	v_cndmask_b32_e64 v5, v20, v5, s[0:1]
	v_cndmask_b32_e64 v18, v22, v21, s[2:3]
	;; [unrolled: 1-line block ×3, first 2 shown]
	s_waitcnt lgkmcnt(0)
	v_add_f16_e32 v18, v23, v18
	v_cmp_gt_u32_e32 vcc, v15, v17
	v_cndmask_b32_e32 v5, v18, v5, vcc
	s_branch .LBB84_1
.LBB84_4:
	v_mov_b32_e32 v2, s9
	v_add_co_u32_e32 v0, vcc, s8, v0
	v_addc_co_u32_e32 v1, vcc, v2, v1, vcc
	global_store_short v[0:1], v5, off
	s_endpgm
	.section	.rodata,"a",@progbits
	.p2align	6, 0x0
	.amdhsa_kernel _Z28segmented_warp_reduce_kernelI6__halfhLj32ELj100EEvPKT_PT0_PS1_
		.amdhsa_group_segment_fixed_size 0
		.amdhsa_private_segment_fixed_size 0
		.amdhsa_kernarg_size 280
		.amdhsa_user_sgpr_count 6
		.amdhsa_user_sgpr_private_segment_buffer 1
		.amdhsa_user_sgpr_dispatch_ptr 0
		.amdhsa_user_sgpr_queue_ptr 0
		.amdhsa_user_sgpr_kernarg_segment_ptr 1
		.amdhsa_user_sgpr_dispatch_id 0
		.amdhsa_user_sgpr_flat_scratch_init 0
		.amdhsa_user_sgpr_kernarg_preload_length 0
		.amdhsa_user_sgpr_kernarg_preload_offset 0
		.amdhsa_user_sgpr_private_segment_size 0
		.amdhsa_uses_dynamic_stack 0
		.amdhsa_system_sgpr_private_segment_wavefront_offset 0
		.amdhsa_system_sgpr_workgroup_id_x 1
		.amdhsa_system_sgpr_workgroup_id_y 0
		.amdhsa_system_sgpr_workgroup_id_z 0
		.amdhsa_system_sgpr_workgroup_info 0
		.amdhsa_system_vgpr_workitem_id 0
		.amdhsa_next_free_vgpr 24
		.amdhsa_next_free_sgpr 11
		.amdhsa_accum_offset 24
		.amdhsa_reserve_vcc 1
		.amdhsa_reserve_flat_scratch 0
		.amdhsa_float_round_mode_32 0
		.amdhsa_float_round_mode_16_64 0
		.amdhsa_float_denorm_mode_32 3
		.amdhsa_float_denorm_mode_16_64 3
		.amdhsa_dx10_clamp 1
		.amdhsa_ieee_mode 1
		.amdhsa_fp16_overflow 0
		.amdhsa_tg_split 0
		.amdhsa_exception_fp_ieee_invalid_op 0
		.amdhsa_exception_fp_denorm_src 0
		.amdhsa_exception_fp_ieee_div_zero 0
		.amdhsa_exception_fp_ieee_overflow 0
		.amdhsa_exception_fp_ieee_underflow 0
		.amdhsa_exception_fp_ieee_inexact 0
		.amdhsa_exception_int_div_zero 0
	.end_amdhsa_kernel
	.section	.text._Z28segmented_warp_reduce_kernelI6__halfhLj32ELj100EEvPKT_PT0_PS1_,"axG",@progbits,_Z28segmented_warp_reduce_kernelI6__halfhLj32ELj100EEvPKT_PT0_PS1_,comdat
.Lfunc_end84:
	.size	_Z28segmented_warp_reduce_kernelI6__halfhLj32ELj100EEvPKT_PT0_PS1_, .Lfunc_end84-_Z28segmented_warp_reduce_kernelI6__halfhLj32ELj100EEvPKT_PT0_PS1_
                                        ; -- End function
	.section	.AMDGPU.csdata,"",@progbits
; Kernel info:
; codeLenInByte = 572
; NumSgprs: 15
; NumVgprs: 24
; NumAgprs: 0
; TotalNumVgprs: 24
; ScratchSize: 0
; MemoryBound: 0
; FloatMode: 240
; IeeeMode: 1
; LDSByteSize: 0 bytes/workgroup (compile time only)
; SGPRBlocks: 1
; VGPRBlocks: 2
; NumSGPRsForWavesPerEU: 15
; NumVGPRsForWavesPerEU: 24
; AccumOffset: 24
; Occupancy: 8
; WaveLimiterHint : 0
; COMPUTE_PGM_RSRC2:SCRATCH_EN: 0
; COMPUTE_PGM_RSRC2:USER_SGPR: 6
; COMPUTE_PGM_RSRC2:TRAP_HANDLER: 0
; COMPUTE_PGM_RSRC2:TGID_X_EN: 1
; COMPUTE_PGM_RSRC2:TGID_Y_EN: 0
; COMPUTE_PGM_RSRC2:TGID_Z_EN: 0
; COMPUTE_PGM_RSRC2:TIDIG_COMP_CNT: 0
; COMPUTE_PGM_RSRC3_GFX90A:ACCUM_OFFSET: 5
; COMPUTE_PGM_RSRC3_GFX90A:TG_SPLIT: 0
	.section	.text._Z28segmented_warp_reduce_kernelI6__halfhLj37ELj100EEvPKT_PT0_PS1_,"axG",@progbits,_Z28segmented_warp_reduce_kernelI6__halfhLj37ELj100EEvPKT_PT0_PS1_,comdat
	.protected	_Z28segmented_warp_reduce_kernelI6__halfhLj37ELj100EEvPKT_PT0_PS1_ ; -- Begin function _Z28segmented_warp_reduce_kernelI6__halfhLj37ELj100EEvPKT_PT0_PS1_
	.globl	_Z28segmented_warp_reduce_kernelI6__halfhLj37ELj100EEvPKT_PT0_PS1_
	.p2align	8
	.type	_Z28segmented_warp_reduce_kernelI6__halfhLj37ELj100EEvPKT_PT0_PS1_,@function
_Z28segmented_warp_reduce_kernelI6__halfhLj37ELj100EEvPKT_PT0_PS1_: ; @_Z28segmented_warp_reduce_kernelI6__halfhLj37ELj100EEvPKT_PT0_PS1_
; %bb.0:
	s_load_dword s2, s[4:5], 0x24
	s_load_dwordx4 s[8:11], s[4:5], 0x0
	s_load_dwordx2 s[0:1], s[4:5], 0x10
	v_mov_b32_e32 v3, 0
	s_movk_i32 s4, 0x64
	s_waitcnt lgkmcnt(0)
	s_and_b32 s2, s2, 0xffff
	s_mul_i32 s6, s6, s2
	v_add_u32_e32 v2, s6, v0
	v_lshlrev_b64 v[0:1], 1, v[2:3]
	v_mov_b32_e32 v3, s9
	global_load_ubyte v13, v2, s[10:11]
	v_add_co_u32_e32 v2, vcc, s8, v0
	v_addc_co_u32_e32 v3, vcc, v3, v1, vcc
	global_load_ushort v3, v[2:3], off
	v_mbcnt_lo_u32_b32 v2, -1, 0
	v_mbcnt_hi_u32_b32 v4, -1, v2
	s_mov_b32 s2, 0x6eb3e46
	v_mul_hi_u32 v2, v4, s2
	v_mul_u32_u24_e32 v2, 37, v2
	v_sub_u32_e32 v6, v4, v2
	v_lshlrev_b64 v[4:5], v4, -1
	v_lshlrev_b32_e32 v7, 1, v6
	v_add_u32_e32 v8, 2, v6
	v_add_u32_e32 v9, 4, v6
	v_add_u32_e32 v10, 8, v6
	v_add_u32_e32 v11, 16, v6
	v_add_u32_e32 v12, 32, v6
	s_waitcnt vmcnt(1)
	v_cmp_ne_u16_e32 vcc, 0, v13
	v_cndmask_b32_e64 v13, 0, 1, vcc
	s_branch .LBB85_2
.LBB85_1:                               ;   in Loop: Header=BB85_2 Depth=1
	s_or_b64 exec, exec, s[2:3]
	s_add_i32 s4, s4, -1
	s_cmp_eq_u32 s4, 0
	; wave barrier
	s_cbranch_scc1 .LBB85_14
.LBB85_2:                               ; =>This Inner Loop Header: Depth=1
	v_cmp_ne_u32_e32 vcc, 0, v13
	s_lshr_b64 s[2:3], vcc, 1
	v_and_b32_e32 v15, s3, v5
	v_and_b32_e32 v14, s2, v4
	v_lshrrev_b64 v[14:15], v2, v[14:15]
	v_or_b32_e32 v15, 16, v15
	v_ffbl_b32_e32 v15, v15
	v_add_u32_e32 v15, 32, v15
	v_ffbl_b32_e32 v14, v14
	v_min_u32_e32 v14, v14, v15
	v_cmp_lt_u32_e32 vcc, v6, v14
	s_waitcnt vmcnt(0)
	ds_write_b16 v7, v3
	; wave barrier
	s_and_saveexec_b64 s[2:3], vcc
	s_cbranch_execz .LBB85_4
; %bb.3:                                ;   in Loop: Header=BB85_2 Depth=1
	ds_read_u16 v15, v7 offset:2
	s_waitcnt lgkmcnt(0)
	v_add_f16_e32 v3, v3, v15
.LBB85_4:                               ;   in Loop: Header=BB85_2 Depth=1
	s_or_b64 exec, exec, s[2:3]
	v_cmp_le_u32_e32 vcc, v8, v14
	; wave barrier
	ds_write_b16 v7, v3
	; wave barrier
	s_and_saveexec_b64 s[2:3], vcc
	s_cbranch_execz .LBB85_6
; %bb.5:                                ;   in Loop: Header=BB85_2 Depth=1
	ds_read_u16 v15, v7 offset:4
	s_waitcnt lgkmcnt(0)
	v_add_f16_e32 v3, v3, v15
.LBB85_6:                               ;   in Loop: Header=BB85_2 Depth=1
	s_or_b64 exec, exec, s[2:3]
	v_cmp_le_u32_e32 vcc, v9, v14
	; wave barrier
	ds_write_b16 v7, v3
	; wave barrier
	s_and_saveexec_b64 s[2:3], vcc
	s_cbranch_execz .LBB85_8
; %bb.7:                                ;   in Loop: Header=BB85_2 Depth=1
	ds_read_u16 v15, v7 offset:8
	s_waitcnt lgkmcnt(0)
	v_add_f16_e32 v3, v3, v15
.LBB85_8:                               ;   in Loop: Header=BB85_2 Depth=1
	s_or_b64 exec, exec, s[2:3]
	v_cmp_le_u32_e32 vcc, v10, v14
	; wave barrier
	ds_write_b16 v7, v3
	; wave barrier
	s_and_saveexec_b64 s[2:3], vcc
	s_cbranch_execz .LBB85_10
; %bb.9:                                ;   in Loop: Header=BB85_2 Depth=1
	ds_read_u16 v15, v7 offset:16
	s_waitcnt lgkmcnt(0)
	v_add_f16_e32 v3, v3, v15
.LBB85_10:                              ;   in Loop: Header=BB85_2 Depth=1
	s_or_b64 exec, exec, s[2:3]
	v_cmp_le_u32_e32 vcc, v11, v14
	; wave barrier
	ds_write_b16 v7, v3
	; wave barrier
	s_and_saveexec_b64 s[2:3], vcc
	s_cbranch_execz .LBB85_12
; %bb.11:                               ;   in Loop: Header=BB85_2 Depth=1
	ds_read_u16 v15, v7 offset:32
	s_waitcnt lgkmcnt(0)
	v_add_f16_e32 v3, v3, v15
.LBB85_12:                              ;   in Loop: Header=BB85_2 Depth=1
	s_or_b64 exec, exec, s[2:3]
	v_cmp_le_u32_e32 vcc, v12, v14
	; wave barrier
	ds_write_b16 v7, v3
	; wave barrier
	s_and_saveexec_b64 s[2:3], vcc
	s_cbranch_execz .LBB85_1
; %bb.13:                               ;   in Loop: Header=BB85_2 Depth=1
	ds_read_u16 v14, v7 offset:64
	s_waitcnt lgkmcnt(0)
	v_add_f16_e32 v3, v3, v14
	s_branch .LBB85_1
.LBB85_14:
	v_mov_b32_e32 v2, s1
	v_add_co_u32_e32 v0, vcc, s0, v0
	v_addc_co_u32_e32 v1, vcc, v2, v1, vcc
	global_store_short v[0:1], v3, off
	s_endpgm
	.section	.rodata,"a",@progbits
	.p2align	6, 0x0
	.amdhsa_kernel _Z28segmented_warp_reduce_kernelI6__halfhLj37ELj100EEvPKT_PT0_PS1_
		.amdhsa_group_segment_fixed_size 74
		.amdhsa_private_segment_fixed_size 0
		.amdhsa_kernarg_size 280
		.amdhsa_user_sgpr_count 6
		.amdhsa_user_sgpr_private_segment_buffer 1
		.amdhsa_user_sgpr_dispatch_ptr 0
		.amdhsa_user_sgpr_queue_ptr 0
		.amdhsa_user_sgpr_kernarg_segment_ptr 1
		.amdhsa_user_sgpr_dispatch_id 0
		.amdhsa_user_sgpr_flat_scratch_init 0
		.amdhsa_user_sgpr_kernarg_preload_length 0
		.amdhsa_user_sgpr_kernarg_preload_offset 0
		.amdhsa_user_sgpr_private_segment_size 0
		.amdhsa_uses_dynamic_stack 0
		.amdhsa_system_sgpr_private_segment_wavefront_offset 0
		.amdhsa_system_sgpr_workgroup_id_x 1
		.amdhsa_system_sgpr_workgroup_id_y 0
		.amdhsa_system_sgpr_workgroup_id_z 0
		.amdhsa_system_sgpr_workgroup_info 0
		.amdhsa_system_vgpr_workitem_id 0
		.amdhsa_next_free_vgpr 16
		.amdhsa_next_free_sgpr 12
		.amdhsa_accum_offset 16
		.amdhsa_reserve_vcc 1
		.amdhsa_reserve_flat_scratch 0
		.amdhsa_float_round_mode_32 0
		.amdhsa_float_round_mode_16_64 0
		.amdhsa_float_denorm_mode_32 3
		.amdhsa_float_denorm_mode_16_64 3
		.amdhsa_dx10_clamp 1
		.amdhsa_ieee_mode 1
		.amdhsa_fp16_overflow 0
		.amdhsa_tg_split 0
		.amdhsa_exception_fp_ieee_invalid_op 0
		.amdhsa_exception_fp_denorm_src 0
		.amdhsa_exception_fp_ieee_div_zero 0
		.amdhsa_exception_fp_ieee_overflow 0
		.amdhsa_exception_fp_ieee_underflow 0
		.amdhsa_exception_fp_ieee_inexact 0
		.amdhsa_exception_int_div_zero 0
	.end_amdhsa_kernel
	.section	.text._Z28segmented_warp_reduce_kernelI6__halfhLj37ELj100EEvPKT_PT0_PS1_,"axG",@progbits,_Z28segmented_warp_reduce_kernelI6__halfhLj37ELj100EEvPKT_PT0_PS1_,comdat
.Lfunc_end85:
	.size	_Z28segmented_warp_reduce_kernelI6__halfhLj37ELj100EEvPKT_PT0_PS1_, .Lfunc_end85-_Z28segmented_warp_reduce_kernelI6__halfhLj37ELj100EEvPKT_PT0_PS1_
                                        ; -- End function
	.section	.AMDGPU.csdata,"",@progbits
; Kernel info:
; codeLenInByte = 508
; NumSgprs: 16
; NumVgprs: 16
; NumAgprs: 0
; TotalNumVgprs: 16
; ScratchSize: 0
; MemoryBound: 0
; FloatMode: 240
; IeeeMode: 1
; LDSByteSize: 74 bytes/workgroup (compile time only)
; SGPRBlocks: 1
; VGPRBlocks: 1
; NumSGPRsForWavesPerEU: 16
; NumVGPRsForWavesPerEU: 16
; AccumOffset: 16
; Occupancy: 8
; WaveLimiterHint : 0
; COMPUTE_PGM_RSRC2:SCRATCH_EN: 0
; COMPUTE_PGM_RSRC2:USER_SGPR: 6
; COMPUTE_PGM_RSRC2:TRAP_HANDLER: 0
; COMPUTE_PGM_RSRC2:TGID_X_EN: 1
; COMPUTE_PGM_RSRC2:TGID_Y_EN: 0
; COMPUTE_PGM_RSRC2:TGID_Z_EN: 0
; COMPUTE_PGM_RSRC2:TIDIG_COMP_CNT: 0
; COMPUTE_PGM_RSRC3_GFX90A:ACCUM_OFFSET: 3
; COMPUTE_PGM_RSRC3_GFX90A:TG_SPLIT: 0
	.section	.text._Z28segmented_warp_reduce_kernelI6__halfhLj61ELj100EEvPKT_PT0_PS1_,"axG",@progbits,_Z28segmented_warp_reduce_kernelI6__halfhLj61ELj100EEvPKT_PT0_PS1_,comdat
	.protected	_Z28segmented_warp_reduce_kernelI6__halfhLj61ELj100EEvPKT_PT0_PS1_ ; -- Begin function _Z28segmented_warp_reduce_kernelI6__halfhLj61ELj100EEvPKT_PT0_PS1_
	.globl	_Z28segmented_warp_reduce_kernelI6__halfhLj61ELj100EEvPKT_PT0_PS1_
	.p2align	8
	.type	_Z28segmented_warp_reduce_kernelI6__halfhLj61ELj100EEvPKT_PT0_PS1_,@function
_Z28segmented_warp_reduce_kernelI6__halfhLj61ELj100EEvPKT_PT0_PS1_: ; @_Z28segmented_warp_reduce_kernelI6__halfhLj61ELj100EEvPKT_PT0_PS1_
; %bb.0:
	s_load_dword s2, s[4:5], 0x24
	s_load_dwordx4 s[8:11], s[4:5], 0x0
	s_load_dwordx2 s[0:1], s[4:5], 0x10
	v_mov_b32_e32 v3, 0
	s_movk_i32 s4, 0x64
	s_waitcnt lgkmcnt(0)
	s_and_b32 s2, s2, 0xffff
	s_mul_i32 s6, s6, s2
	v_add_u32_e32 v2, s6, v0
	v_lshlrev_b64 v[0:1], 1, v[2:3]
	v_mov_b32_e32 v3, s9
	global_load_ubyte v13, v2, s[10:11]
	v_add_co_u32_e32 v2, vcc, s8, v0
	v_addc_co_u32_e32 v3, vcc, v3, v1, vcc
	global_load_ushort v3, v[2:3], off
	v_mbcnt_lo_u32_b32 v2, -1, 0
	v_mbcnt_hi_u32_b32 v4, -1, v2
	s_mov_b32 s2, 0x4325c54
	v_mul_hi_u32 v2, v4, s2
	v_mul_u32_u24_e32 v2, 61, v2
	v_sub_u32_e32 v6, v4, v2
	v_lshlrev_b64 v[4:5], v4, -1
	v_lshlrev_b32_e32 v7, 1, v6
	v_add_u32_e32 v8, 2, v6
	v_add_u32_e32 v9, 4, v6
	;; [unrolled: 1-line block ×5, first 2 shown]
	s_waitcnt vmcnt(1)
	v_cmp_ne_u16_e32 vcc, 0, v13
	v_cndmask_b32_e64 v13, 0, 1, vcc
	s_branch .LBB86_2
.LBB86_1:                               ;   in Loop: Header=BB86_2 Depth=1
	s_or_b64 exec, exec, s[2:3]
	s_add_i32 s4, s4, -1
	s_cmp_eq_u32 s4, 0
	; wave barrier
	s_cbranch_scc1 .LBB86_14
.LBB86_2:                               ; =>This Inner Loop Header: Depth=1
	v_cmp_ne_u32_e32 vcc, 0, v13
	s_lshr_b64 s[2:3], vcc, 1
	v_and_b32_e32 v15, s3, v5
	v_and_b32_e32 v14, s2, v4
	v_lshrrev_b64 v[14:15], v2, v[14:15]
	v_or_b32_e32 v15, 0x10000000, v15
	v_ffbl_b32_e32 v15, v15
	v_add_u32_e32 v15, 32, v15
	v_ffbl_b32_e32 v14, v14
	v_min_u32_e32 v14, v14, v15
	v_cmp_lt_u32_e32 vcc, v6, v14
	s_waitcnt vmcnt(0)
	ds_write_b16 v7, v3
	; wave barrier
	s_and_saveexec_b64 s[2:3], vcc
	s_cbranch_execz .LBB86_4
; %bb.3:                                ;   in Loop: Header=BB86_2 Depth=1
	ds_read_u16 v15, v7 offset:2
	s_waitcnt lgkmcnt(0)
	v_add_f16_e32 v3, v3, v15
.LBB86_4:                               ;   in Loop: Header=BB86_2 Depth=1
	s_or_b64 exec, exec, s[2:3]
	v_cmp_le_u32_e32 vcc, v8, v14
	; wave barrier
	ds_write_b16 v7, v3
	; wave barrier
	s_and_saveexec_b64 s[2:3], vcc
	s_cbranch_execz .LBB86_6
; %bb.5:                                ;   in Loop: Header=BB86_2 Depth=1
	ds_read_u16 v15, v7 offset:4
	s_waitcnt lgkmcnt(0)
	v_add_f16_e32 v3, v3, v15
.LBB86_6:                               ;   in Loop: Header=BB86_2 Depth=1
	s_or_b64 exec, exec, s[2:3]
	v_cmp_le_u32_e32 vcc, v9, v14
	; wave barrier
	;; [unrolled: 12-line block ×3, first 2 shown]
	ds_write_b16 v7, v3
	; wave barrier
	s_and_saveexec_b64 s[2:3], vcc
	s_cbranch_execz .LBB86_10
; %bb.9:                                ;   in Loop: Header=BB86_2 Depth=1
	ds_read_u16 v15, v7 offset:16
	s_waitcnt lgkmcnt(0)
	v_add_f16_e32 v3, v3, v15
.LBB86_10:                              ;   in Loop: Header=BB86_2 Depth=1
	s_or_b64 exec, exec, s[2:3]
	v_cmp_le_u32_e32 vcc, v11, v14
	; wave barrier
	ds_write_b16 v7, v3
	; wave barrier
	s_and_saveexec_b64 s[2:3], vcc
	s_cbranch_execz .LBB86_12
; %bb.11:                               ;   in Loop: Header=BB86_2 Depth=1
	ds_read_u16 v15, v7 offset:32
	s_waitcnt lgkmcnt(0)
	v_add_f16_e32 v3, v3, v15
.LBB86_12:                              ;   in Loop: Header=BB86_2 Depth=1
	s_or_b64 exec, exec, s[2:3]
	v_cmp_le_u32_e32 vcc, v12, v14
	; wave barrier
	ds_write_b16 v7, v3
	; wave barrier
	s_and_saveexec_b64 s[2:3], vcc
	s_cbranch_execz .LBB86_1
; %bb.13:                               ;   in Loop: Header=BB86_2 Depth=1
	ds_read_u16 v14, v7 offset:64
	s_waitcnt lgkmcnt(0)
	v_add_f16_e32 v3, v3, v14
	s_branch .LBB86_1
.LBB86_14:
	v_mov_b32_e32 v2, s1
	v_add_co_u32_e32 v0, vcc, s0, v0
	v_addc_co_u32_e32 v1, vcc, v2, v1, vcc
	global_store_short v[0:1], v3, off
	s_endpgm
	.section	.rodata,"a",@progbits
	.p2align	6, 0x0
	.amdhsa_kernel _Z28segmented_warp_reduce_kernelI6__halfhLj61ELj100EEvPKT_PT0_PS1_
		.amdhsa_group_segment_fixed_size 122
		.amdhsa_private_segment_fixed_size 0
		.amdhsa_kernarg_size 280
		.amdhsa_user_sgpr_count 6
		.amdhsa_user_sgpr_private_segment_buffer 1
		.amdhsa_user_sgpr_dispatch_ptr 0
		.amdhsa_user_sgpr_queue_ptr 0
		.amdhsa_user_sgpr_kernarg_segment_ptr 1
		.amdhsa_user_sgpr_dispatch_id 0
		.amdhsa_user_sgpr_flat_scratch_init 0
		.amdhsa_user_sgpr_kernarg_preload_length 0
		.amdhsa_user_sgpr_kernarg_preload_offset 0
		.amdhsa_user_sgpr_private_segment_size 0
		.amdhsa_uses_dynamic_stack 0
		.amdhsa_system_sgpr_private_segment_wavefront_offset 0
		.amdhsa_system_sgpr_workgroup_id_x 1
		.amdhsa_system_sgpr_workgroup_id_y 0
		.amdhsa_system_sgpr_workgroup_id_z 0
		.amdhsa_system_sgpr_workgroup_info 0
		.amdhsa_system_vgpr_workitem_id 0
		.amdhsa_next_free_vgpr 16
		.amdhsa_next_free_sgpr 12
		.amdhsa_accum_offset 16
		.amdhsa_reserve_vcc 1
		.amdhsa_reserve_flat_scratch 0
		.amdhsa_float_round_mode_32 0
		.amdhsa_float_round_mode_16_64 0
		.amdhsa_float_denorm_mode_32 3
		.amdhsa_float_denorm_mode_16_64 3
		.amdhsa_dx10_clamp 1
		.amdhsa_ieee_mode 1
		.amdhsa_fp16_overflow 0
		.amdhsa_tg_split 0
		.amdhsa_exception_fp_ieee_invalid_op 0
		.amdhsa_exception_fp_denorm_src 0
		.amdhsa_exception_fp_ieee_div_zero 0
		.amdhsa_exception_fp_ieee_overflow 0
		.amdhsa_exception_fp_ieee_underflow 0
		.amdhsa_exception_fp_ieee_inexact 0
		.amdhsa_exception_int_div_zero 0
	.end_amdhsa_kernel
	.section	.text._Z28segmented_warp_reduce_kernelI6__halfhLj61ELj100EEvPKT_PT0_PS1_,"axG",@progbits,_Z28segmented_warp_reduce_kernelI6__halfhLj61ELj100EEvPKT_PT0_PS1_,comdat
.Lfunc_end86:
	.size	_Z28segmented_warp_reduce_kernelI6__halfhLj61ELj100EEvPKT_PT0_PS1_, .Lfunc_end86-_Z28segmented_warp_reduce_kernelI6__halfhLj61ELj100EEvPKT_PT0_PS1_
                                        ; -- End function
	.section	.AMDGPU.csdata,"",@progbits
; Kernel info:
; codeLenInByte = 512
; NumSgprs: 16
; NumVgprs: 16
; NumAgprs: 0
; TotalNumVgprs: 16
; ScratchSize: 0
; MemoryBound: 0
; FloatMode: 240
; IeeeMode: 1
; LDSByteSize: 122 bytes/workgroup (compile time only)
; SGPRBlocks: 1
; VGPRBlocks: 1
; NumSGPRsForWavesPerEU: 16
; NumVGPRsForWavesPerEU: 16
; AccumOffset: 16
; Occupancy: 8
; WaveLimiterHint : 0
; COMPUTE_PGM_RSRC2:SCRATCH_EN: 0
; COMPUTE_PGM_RSRC2:USER_SGPR: 6
; COMPUTE_PGM_RSRC2:TRAP_HANDLER: 0
; COMPUTE_PGM_RSRC2:TGID_X_EN: 1
; COMPUTE_PGM_RSRC2:TGID_Y_EN: 0
; COMPUTE_PGM_RSRC2:TGID_Z_EN: 0
; COMPUTE_PGM_RSRC2:TIDIG_COMP_CNT: 0
; COMPUTE_PGM_RSRC3_GFX90A:ACCUM_OFFSET: 3
; COMPUTE_PGM_RSRC3_GFX90A:TG_SPLIT: 0
	.section	.text._Z28segmented_warp_reduce_kernelI6__halfhLj64ELj100EEvPKT_PT0_PS1_,"axG",@progbits,_Z28segmented_warp_reduce_kernelI6__halfhLj64ELj100EEvPKT_PT0_PS1_,comdat
	.protected	_Z28segmented_warp_reduce_kernelI6__halfhLj64ELj100EEvPKT_PT0_PS1_ ; -- Begin function _Z28segmented_warp_reduce_kernelI6__halfhLj64ELj100EEvPKT_PT0_PS1_
	.globl	_Z28segmented_warp_reduce_kernelI6__halfhLj64ELj100EEvPKT_PT0_PS1_
	.p2align	8
	.type	_Z28segmented_warp_reduce_kernelI6__halfhLj64ELj100EEvPKT_PT0_PS1_,@function
_Z28segmented_warp_reduce_kernelI6__halfhLj64ELj100EEvPKT_PT0_PS1_: ; @_Z28segmented_warp_reduce_kernelI6__halfhLj64ELj100EEvPKT_PT0_PS1_
; %bb.0:
	s_load_dword s7, s[4:5], 0x24
	s_load_dwordx4 s[0:3], s[4:5], 0x0
	s_load_dwordx2 s[8:9], s[4:5], 0x10
	v_mov_b32_e32 v3, 0
	s_movk_i32 s12, 0x64
	s_waitcnt lgkmcnt(0)
	s_and_b32 s4, s7, 0xffff
	s_mul_i32 s6, s6, s4
	v_add_u32_e32 v2, s6, v0
	v_lshlrev_b64 v[0:1], 1, v[2:3]
	v_mov_b32_e32 v3, s1
	global_load_ubyte v17, v2, s[2:3]
	v_add_co_u32_e32 v2, vcc, s0, v0
	v_addc_co_u32_e32 v3, vcc, v3, v1, vcc
	global_load_ushort v4, v[2:3], off
	v_mbcnt_lo_u32_b32 v2, -1, 0
	v_mbcnt_hi_u32_b32 v16, -1, v2
	v_and_b32_e32 v15, 63, v16
	v_cmp_ne_u32_e32 vcc, 63, v15
	v_addc_co_u32_e32 v5, vcc, 0, v16, vcc
	v_cmp_gt_u32_e32 vcc, 62, v15
	v_cndmask_b32_e64 v7, 0, 1, vcc
	v_cmp_gt_u32_e32 vcc, 60, v15
	v_cndmask_b32_e64 v9, 0, 1, vcc
	;; [unrolled: 2-line block ×5, first 2 shown]
	v_lshlrev_b32_e32 v7, 1, v7
	v_lshlrev_b32_e32 v9, 2, v9
	;; [unrolled: 1-line block ×5, first 2 shown]
	v_lshlrev_b64 v[2:3], v16, -1
	v_lshlrev_b32_e32 v5, 2, v5
	v_add_u32_e32 v6, 1, v16
	v_add_lshl_u32 v7, v7, v16, 2
	v_add_u32_e32 v8, 2, v16
	v_add_lshl_u32 v9, v9, v16, 2
	;; [unrolled: 2-line block ×5, first 2 shown]
	v_add_u32_e32 v16, 32, v16
	s_waitcnt vmcnt(1)
	v_cmp_ne_u16_e32 vcc, 0, v17
	v_cndmask_b32_e64 v17, 0, 1, vcc
	s_branch .LBB87_2
.LBB87_1:                               ;   in Loop: Header=BB87_2 Depth=1
	s_or_b64 exec, exec, s[10:11]
	s_add_i32 s12, s12, -1
	s_cmp_eq_u32 s12, 0
	s_cbranch_scc1 .LBB87_4
.LBB87_2:                               ; =>This Inner Loop Header: Depth=1
	v_cmp_ne_u32_e32 vcc, 0, v17
	s_lshr_b64 s[0:1], vcc, 1
	s_waitcnt vmcnt(0)
	v_and_b32_e32 v20, 0xffff, v4
	v_and_b32_e32 v18, s1, v3
	ds_bpermute_b32 v21, v5, v20
	v_or_b32_e32 v18, 0x80000000, v18
	v_and_b32_e32 v19, s0, v2
	v_ffbl_b32_e32 v18, v18
	v_add_u32_e32 v18, 32, v18
	v_ffbl_b32_e32 v19, v19
	v_min_u32_e32 v25, v19, v18
	s_waitcnt lgkmcnt(0)
	v_add_f16_e32 v18, v4, v21
	v_cmp_le_u32_e64 s[4:5], v6, v25
	v_cndmask_b32_e64 v20, v20, v18, s[4:5]
	ds_bpermute_b32 v19, v7, v20
	v_cndmask_b32_e64 v21, v4, v18, s[4:5]
	v_cmp_le_u32_e32 vcc, v8, v25
	v_cmp_le_u32_e64 s[0:1], v10, v25
	v_cmp_le_u32_e64 s[2:3], v12, v25
	s_waitcnt lgkmcnt(0)
	v_add_f16_e32 v19, v19, v21
	v_cndmask_b32_e32 v22, v20, v19, vcc
	ds_bpermute_b32 v20, v9, v22
	v_cndmask_b32_e32 v21, v21, v19, vcc
	s_or_b64 s[4:5], s[4:5], vcc
	s_or_b64 s[6:7], s[0:1], s[4:5]
	v_cmp_le_u32_e64 s[4:5], v14, v25
	s_waitcnt lgkmcnt(0)
	v_add_f16_e32 v20, v20, v21
	v_cndmask_b32_e64 v22, v22, v20, s[0:1]
	ds_bpermute_b32 v23, v11, v22
	v_cndmask_b32_e64 v24, v21, v20, s[0:1]
	s_or_b64 s[6:7], s[2:3], s[6:7]
	s_or_b64 s[10:11], s[4:5], s[6:7]
	v_cmp_le_u32_e64 s[6:7], v16, v25
	s_waitcnt lgkmcnt(0)
	v_add_f16_e32 v21, v23, v24
	v_cndmask_b32_e64 v26, v22, v21, s[2:3]
	ds_bpermute_b32 v23, v13, v26
	v_cndmask_b32_e64 v22, v24, v21, s[2:3]
	s_or_b64 s[14:15], s[6:7], s[10:11]
	s_waitcnt lgkmcnt(0)
	v_add_f16_e32 v23, v23, v22
	v_cndmask_b32_e64 v24, v26, v23, s[4:5]
	ds_bpermute_b32 v24, v15, v24
	s_and_saveexec_b64 s[10:11], s[14:15]
	s_cbranch_execz .LBB87_1
; %bb.3:                                ;   in Loop: Header=BB87_2 Depth=1
	v_cndmask_b32_e32 v4, v18, v19, vcc
	v_cndmask_b32_e64 v4, v4, v20, s[0:1]
	v_cndmask_b32_e64 v4, v4, v21, s[2:3]
	;; [unrolled: 1-line block ×4, first 2 shown]
	s_waitcnt lgkmcnt(0)
	v_add_f16_e32 v18, v24, v18
	v_cndmask_b32_e64 v4, v4, v18, s[6:7]
	s_branch .LBB87_1
.LBB87_4:
	v_mov_b32_e32 v2, s9
	v_add_co_u32_e32 v0, vcc, s8, v0
	v_addc_co_u32_e32 v1, vcc, v2, v1, vcc
	global_store_short v[0:1], v4, off
	s_endpgm
	.section	.rodata,"a",@progbits
	.p2align	6, 0x0
	.amdhsa_kernel _Z28segmented_warp_reduce_kernelI6__halfhLj64ELj100EEvPKT_PT0_PS1_
		.amdhsa_group_segment_fixed_size 0
		.amdhsa_private_segment_fixed_size 0
		.amdhsa_kernarg_size 280
		.amdhsa_user_sgpr_count 6
		.amdhsa_user_sgpr_private_segment_buffer 1
		.amdhsa_user_sgpr_dispatch_ptr 0
		.amdhsa_user_sgpr_queue_ptr 0
		.amdhsa_user_sgpr_kernarg_segment_ptr 1
		.amdhsa_user_sgpr_dispatch_id 0
		.amdhsa_user_sgpr_flat_scratch_init 0
		.amdhsa_user_sgpr_kernarg_preload_length 0
		.amdhsa_user_sgpr_kernarg_preload_offset 0
		.amdhsa_user_sgpr_private_segment_size 0
		.amdhsa_uses_dynamic_stack 0
		.amdhsa_system_sgpr_private_segment_wavefront_offset 0
		.amdhsa_system_sgpr_workgroup_id_x 1
		.amdhsa_system_sgpr_workgroup_id_y 0
		.amdhsa_system_sgpr_workgroup_id_z 0
		.amdhsa_system_sgpr_workgroup_info 0
		.amdhsa_system_vgpr_workitem_id 0
		.amdhsa_next_free_vgpr 27
		.amdhsa_next_free_sgpr 16
		.amdhsa_accum_offset 28
		.amdhsa_reserve_vcc 1
		.amdhsa_reserve_flat_scratch 0
		.amdhsa_float_round_mode_32 0
		.amdhsa_float_round_mode_16_64 0
		.amdhsa_float_denorm_mode_32 3
		.amdhsa_float_denorm_mode_16_64 3
		.amdhsa_dx10_clamp 1
		.amdhsa_ieee_mode 1
		.amdhsa_fp16_overflow 0
		.amdhsa_tg_split 0
		.amdhsa_exception_fp_ieee_invalid_op 0
		.amdhsa_exception_fp_denorm_src 0
		.amdhsa_exception_fp_ieee_div_zero 0
		.amdhsa_exception_fp_ieee_overflow 0
		.amdhsa_exception_fp_ieee_underflow 0
		.amdhsa_exception_fp_ieee_inexact 0
		.amdhsa_exception_int_div_zero 0
	.end_amdhsa_kernel
	.section	.text._Z28segmented_warp_reduce_kernelI6__halfhLj64ELj100EEvPKT_PT0_PS1_,"axG",@progbits,_Z28segmented_warp_reduce_kernelI6__halfhLj64ELj100EEvPKT_PT0_PS1_,comdat
.Lfunc_end87:
	.size	_Z28segmented_warp_reduce_kernelI6__halfhLj64ELj100EEvPKT_PT0_PS1_, .Lfunc_end87-_Z28segmented_warp_reduce_kernelI6__halfhLj64ELj100EEvPKT_PT0_PS1_
                                        ; -- End function
	.section	.AMDGPU.csdata,"",@progbits
; Kernel info:
; codeLenInByte = 664
; NumSgprs: 20
; NumVgprs: 27
; NumAgprs: 0
; TotalNumVgprs: 27
; ScratchSize: 0
; MemoryBound: 0
; FloatMode: 240
; IeeeMode: 1
; LDSByteSize: 0 bytes/workgroup (compile time only)
; SGPRBlocks: 2
; VGPRBlocks: 3
; NumSGPRsForWavesPerEU: 20
; NumVGPRsForWavesPerEU: 27
; AccumOffset: 28
; Occupancy: 8
; WaveLimiterHint : 0
; COMPUTE_PGM_RSRC2:SCRATCH_EN: 0
; COMPUTE_PGM_RSRC2:USER_SGPR: 6
; COMPUTE_PGM_RSRC2:TRAP_HANDLER: 0
; COMPUTE_PGM_RSRC2:TGID_X_EN: 1
; COMPUTE_PGM_RSRC2:TGID_Y_EN: 0
; COMPUTE_PGM_RSRC2:TGID_Z_EN: 0
; COMPUTE_PGM_RSRC2:TIDIG_COMP_CNT: 0
; COMPUTE_PGM_RSRC3_GFX90A:ACCUM_OFFSET: 6
; COMPUTE_PGM_RSRC3_GFX90A:TG_SPLIT: 0
	.section	.text._Z28segmented_warp_reduce_kernelInhLj32ELj100EEvPKT_PT0_PS0_,"axG",@progbits,_Z28segmented_warp_reduce_kernelInhLj32ELj100EEvPKT_PT0_PS0_,comdat
	.protected	_Z28segmented_warp_reduce_kernelInhLj32ELj100EEvPKT_PT0_PS0_ ; -- Begin function _Z28segmented_warp_reduce_kernelInhLj32ELj100EEvPKT_PT0_PS0_
	.globl	_Z28segmented_warp_reduce_kernelInhLj32ELj100EEvPKT_PT0_PS0_
	.p2align	8
	.type	_Z28segmented_warp_reduce_kernelInhLj32ELj100EEvPKT_PT0_PS0_,@function
_Z28segmented_warp_reduce_kernelInhLj32ELj100EEvPKT_PT0_PS0_: ; @_Z28segmented_warp_reduce_kernelInhLj32ELj100EEvPKT_PT0_PS0_
; %bb.0:
	s_load_dword s2, s[4:5], 0x24
	s_load_dwordx4 s[8:11], s[4:5], 0x0
	s_load_dwordx2 s[0:1], s[4:5], 0x10
	v_mov_b32_e32 v1, 0
	v_mbcnt_lo_u32_b32 v6, -1, 0
	s_waitcnt lgkmcnt(0)
	s_and_b32 s2, s2, 0xffff
	s_mul_i32 s6, s6, s2
	v_add_u32_e32 v0, s6, v0
	v_lshlrev_b64 v[4:5], 4, v[0:1]
	v_mov_b32_e32 v1, s9
	global_load_ubyte v19, v0, s[10:11]
	v_add_co_u32_e32 v0, vcc, s8, v4
	v_addc_co_u32_e32 v1, vcc, v1, v5, vcc
	global_load_dwordx4 v[0:3], v[0:1], off
	v_mbcnt_hi_u32_b32 v18, -1, v6
	v_and_b32_e32 v9, 31, v18
	v_cmp_ne_u32_e32 vcc, 31, v9
	v_addc_co_u32_e32 v10, vcc, 0, v18, vcc
	v_cmp_gt_u32_e32 vcc, 30, v9
	v_cndmask_b32_e64 v12, 0, 1, vcc
	v_cmp_gt_u32_e32 vcc, 28, v9
	v_cndmask_b32_e64 v14, 0, 1, vcc
	;; [unrolled: 2-line block ×4, first 2 shown]
	v_lshlrev_b32_e32 v12, 1, v12
	v_lshlrev_b32_e32 v14, 2, v14
	;; [unrolled: 1-line block ×4, first 2 shown]
	v_lshlrev_b64 v[6:7], v18, -1
	v_and_b32_e32 v8, 0x60, v18
	v_lshlrev_b32_e32 v10, 2, v10
	v_add_u32_e32 v11, 2, v9
	v_add_lshl_u32 v12, v12, v18, 2
	v_add_u32_e32 v13, 4, v9
	v_add_lshl_u32 v14, v14, v18, 2
	;; [unrolled: 2-line block ×4, first 2 shown]
	s_movk_i32 s4, 0x64
	s_waitcnt vmcnt(1)
	v_cmp_ne_u16_e32 vcc, 0, v19
	v_cndmask_b32_e64 v19, 0, 1, vcc
	s_branch .LBB88_2
.LBB88_1:                               ;   in Loop: Header=BB88_2 Depth=1
	s_or_b64 exec, exec, s[2:3]
	s_add_i32 s4, s4, -1
	s_cmp_eq_u32 s4, 0
	s_cbranch_scc1 .LBB88_12
.LBB88_2:                               ; =>This Inner Loop Header: Depth=1
	v_cmp_ne_u32_e32 vcc, 0, v19
	s_lshr_b64 s[2:3], vcc, 1
	s_waitcnt lgkmcnt(0)
	v_and_b32_e32 v21, s3, v7
	v_and_b32_e32 v20, s2, v6
	v_lshrrev_b64 v[20:21], v8, v[20:21]
	s_waitcnt vmcnt(0)
	ds_bpermute_b32 v26, v10, v0
	ds_bpermute_b32 v25, v10, v1
	;; [unrolled: 1-line block ×4, first 2 shown]
	v_or_b32_e32 v20, 0x80000000, v20
	v_ffbl_b32_e32 v21, v21
	v_add_u32_e32 v21, 32, v21
	v_ffbl_b32_e32 v20, v20
	v_min_u32_e32 v20, v20, v21
	v_cmp_lt_u32_e32 vcc, v9, v20
	v_mov_b32_e32 v22, v2
	v_mov_b32_e32 v21, v0
	s_and_saveexec_b64 s[2:3], vcc
	s_cbranch_execz .LBB88_4
; %bb.3:                                ;   in Loop: Header=BB88_2 Depth=1
	s_waitcnt lgkmcnt(3)
	v_add_co_u32_e32 v21, vcc, v0, v26
	v_addc_co_u32_e32 v1, vcc, 0, v1, vcc
	v_addc_co_u32_e32 v2, vcc, 0, v2, vcc
	v_addc_co_u32_e32 v3, vcc, 0, v3, vcc
	v_add_co_u32_e32 v0, vcc, 0, v21
	s_waitcnt lgkmcnt(2)
	v_addc_co_u32_e32 v1, vcc, v25, v1, vcc
	v_addc_co_u32_e32 v2, vcc, 0, v2, vcc
	v_addc_co_u32_e32 v3, vcc, 0, v3, vcc
	s_waitcnt lgkmcnt(1)
	v_add_co_u32_e32 v22, vcc, v2, v24
	v_addc_co_u32_e32 v3, vcc, 0, v3, vcc
	v_add_co_u32_e32 v2, vcc, 0, v22
	s_waitcnt lgkmcnt(0)
	v_addc_co_u32_e32 v3, vcc, v3, v23, vcc
.LBB88_4:                               ;   in Loop: Header=BB88_2 Depth=1
	s_or_b64 exec, exec, s[2:3]
	s_waitcnt lgkmcnt(3)
	ds_bpermute_b32 v26, v12, v21
	s_waitcnt lgkmcnt(3)
	ds_bpermute_b32 v25, v12, v1
	s_waitcnt lgkmcnt(3)
	ds_bpermute_b32 v24, v12, v22
	s_waitcnt lgkmcnt(3)
	ds_bpermute_b32 v23, v12, v3
	v_cmp_le_u32_e32 vcc, v11, v20
	s_and_saveexec_b64 s[2:3], vcc
	s_cbranch_execz .LBB88_6
; %bb.5:                                ;   in Loop: Header=BB88_2 Depth=1
	s_waitcnt lgkmcnt(3)
	v_add_co_u32_e32 v21, vcc, v0, v26
	v_addc_co_u32_e32 v1, vcc, 0, v1, vcc
	v_addc_co_u32_e32 v2, vcc, 0, v2, vcc
	v_addc_co_u32_e32 v3, vcc, 0, v3, vcc
	v_add_co_u32_e32 v0, vcc, 0, v21
	s_waitcnt lgkmcnt(2)
	v_addc_co_u32_e32 v1, vcc, v25, v1, vcc
	v_addc_co_u32_e32 v2, vcc, 0, v2, vcc
	v_addc_co_u32_e32 v3, vcc, 0, v3, vcc
	s_waitcnt lgkmcnt(1)
	v_add_co_u32_e32 v22, vcc, v2, v24
	v_addc_co_u32_e32 v3, vcc, 0, v3, vcc
	v_add_co_u32_e32 v2, vcc, 0, v22
	s_waitcnt lgkmcnt(0)
	v_addc_co_u32_e32 v3, vcc, v3, v23, vcc
.LBB88_6:                               ;   in Loop: Header=BB88_2 Depth=1
	s_or_b64 exec, exec, s[2:3]
	s_waitcnt lgkmcnt(3)
	ds_bpermute_b32 v26, v14, v21
	s_waitcnt lgkmcnt(3)
	ds_bpermute_b32 v25, v14, v1
	s_waitcnt lgkmcnt(3)
	ds_bpermute_b32 v24, v14, v22
	s_waitcnt lgkmcnt(3)
	ds_bpermute_b32 v23, v14, v3
	v_cmp_le_u32_e32 vcc, v13, v20
	;; [unrolled: 30-line block ×3, first 2 shown]
	s_and_saveexec_b64 s[2:3], vcc
	s_cbranch_execz .LBB88_10
; %bb.9:                                ;   in Loop: Header=BB88_2 Depth=1
	s_waitcnt lgkmcnt(3)
	v_add_co_u32_e32 v21, vcc, v0, v26
	v_addc_co_u32_e32 v1, vcc, 0, v1, vcc
	v_addc_co_u32_e32 v2, vcc, 0, v2, vcc
	;; [unrolled: 1-line block ×3, first 2 shown]
	v_add_co_u32_e32 v0, vcc, 0, v21
	s_waitcnt lgkmcnt(2)
	v_addc_co_u32_e32 v1, vcc, v25, v1, vcc
	v_addc_co_u32_e32 v2, vcc, 0, v2, vcc
	;; [unrolled: 1-line block ×3, first 2 shown]
	s_waitcnt lgkmcnt(1)
	v_add_co_u32_e32 v22, vcc, v2, v24
	v_addc_co_u32_e32 v3, vcc, 0, v3, vcc
	v_add_co_u32_e32 v2, vcc, 0, v22
	s_waitcnt lgkmcnt(0)
	v_addc_co_u32_e32 v3, vcc, v3, v23, vcc
.LBB88_10:                              ;   in Loop: Header=BB88_2 Depth=1
	s_or_b64 exec, exec, s[2:3]
	s_waitcnt lgkmcnt(1)
	ds_bpermute_b32 v24, v18, v21
	s_waitcnt lgkmcnt(1)
	ds_bpermute_b32 v23, v18, v1
	ds_bpermute_b32 v22, v18, v22
	;; [unrolled: 1-line block ×3, first 2 shown]
	v_cmp_le_u32_e32 vcc, v17, v20
	s_and_saveexec_b64 s[2:3], vcc
	s_cbranch_execz .LBB88_1
; %bb.11:                               ;   in Loop: Header=BB88_2 Depth=1
	s_waitcnt lgkmcnt(3)
	v_add_co_u32_e32 v0, vcc, v0, v24
	v_addc_co_u32_e32 v1, vcc, 0, v1, vcc
	v_addc_co_u32_e32 v2, vcc, 0, v2, vcc
	;; [unrolled: 1-line block ×3, first 2 shown]
	v_add_co_u32_e32 v0, vcc, 0, v0
	s_waitcnt lgkmcnt(2)
	v_addc_co_u32_e32 v1, vcc, v1, v23, vcc
	v_addc_co_u32_e32 v2, vcc, 0, v2, vcc
	;; [unrolled: 1-line block ×3, first 2 shown]
	s_waitcnt lgkmcnt(1)
	v_add_co_u32_e32 v2, vcc, v2, v22
	v_addc_co_u32_e32 v3, vcc, 0, v3, vcc
	v_add_co_u32_e32 v2, vcc, 0, v2
	s_waitcnt lgkmcnt(0)
	v_addc_co_u32_e32 v3, vcc, v3, v21, vcc
	s_branch .LBB88_1
.LBB88_12:
	v_mov_b32_e32 v6, s1
	v_add_co_u32_e32 v4, vcc, s0, v4
	v_addc_co_u32_e32 v5, vcc, v6, v5, vcc
	global_store_dwordx4 v[4:5], v[0:3], off
	s_endpgm
	.section	.rodata,"a",@progbits
	.p2align	6, 0x0
	.amdhsa_kernel _Z28segmented_warp_reduce_kernelInhLj32ELj100EEvPKT_PT0_PS0_
		.amdhsa_group_segment_fixed_size 0
		.amdhsa_private_segment_fixed_size 0
		.amdhsa_kernarg_size 280
		.amdhsa_user_sgpr_count 6
		.amdhsa_user_sgpr_private_segment_buffer 1
		.amdhsa_user_sgpr_dispatch_ptr 0
		.amdhsa_user_sgpr_queue_ptr 0
		.amdhsa_user_sgpr_kernarg_segment_ptr 1
		.amdhsa_user_sgpr_dispatch_id 0
		.amdhsa_user_sgpr_flat_scratch_init 0
		.amdhsa_user_sgpr_kernarg_preload_length 0
		.amdhsa_user_sgpr_kernarg_preload_offset 0
		.amdhsa_user_sgpr_private_segment_size 0
		.amdhsa_uses_dynamic_stack 0
		.amdhsa_system_sgpr_private_segment_wavefront_offset 0
		.amdhsa_system_sgpr_workgroup_id_x 1
		.amdhsa_system_sgpr_workgroup_id_y 0
		.amdhsa_system_sgpr_workgroup_id_z 0
		.amdhsa_system_sgpr_workgroup_info 0
		.amdhsa_system_vgpr_workitem_id 0
		.amdhsa_next_free_vgpr 27
		.amdhsa_next_free_sgpr 12
		.amdhsa_accum_offset 28
		.amdhsa_reserve_vcc 1
		.amdhsa_reserve_flat_scratch 0
		.amdhsa_float_round_mode_32 0
		.amdhsa_float_round_mode_16_64 0
		.amdhsa_float_denorm_mode_32 3
		.amdhsa_float_denorm_mode_16_64 3
		.amdhsa_dx10_clamp 1
		.amdhsa_ieee_mode 1
		.amdhsa_fp16_overflow 0
		.amdhsa_tg_split 0
		.amdhsa_exception_fp_ieee_invalid_op 0
		.amdhsa_exception_fp_denorm_src 0
		.amdhsa_exception_fp_ieee_div_zero 0
		.amdhsa_exception_fp_ieee_overflow 0
		.amdhsa_exception_fp_ieee_underflow 0
		.amdhsa_exception_fp_ieee_inexact 0
		.amdhsa_exception_int_div_zero 0
	.end_amdhsa_kernel
	.section	.text._Z28segmented_warp_reduce_kernelInhLj32ELj100EEvPKT_PT0_PS0_,"axG",@progbits,_Z28segmented_warp_reduce_kernelInhLj32ELj100EEvPKT_PT0_PS0_,comdat
.Lfunc_end88:
	.size	_Z28segmented_warp_reduce_kernelInhLj32ELj100EEvPKT_PT0_PS0_, .Lfunc_end88-_Z28segmented_warp_reduce_kernelInhLj32ELj100EEvPKT_PT0_PS0_
                                        ; -- End function
	.section	.AMDGPU.csdata,"",@progbits
; Kernel info:
; codeLenInByte = 988
; NumSgprs: 16
; NumVgprs: 27
; NumAgprs: 0
; TotalNumVgprs: 27
; ScratchSize: 0
; MemoryBound: 0
; FloatMode: 240
; IeeeMode: 1
; LDSByteSize: 0 bytes/workgroup (compile time only)
; SGPRBlocks: 1
; VGPRBlocks: 3
; NumSGPRsForWavesPerEU: 16
; NumVGPRsForWavesPerEU: 27
; AccumOffset: 28
; Occupancy: 8
; WaveLimiterHint : 0
; COMPUTE_PGM_RSRC2:SCRATCH_EN: 0
; COMPUTE_PGM_RSRC2:USER_SGPR: 6
; COMPUTE_PGM_RSRC2:TRAP_HANDLER: 0
; COMPUTE_PGM_RSRC2:TGID_X_EN: 1
; COMPUTE_PGM_RSRC2:TGID_Y_EN: 0
; COMPUTE_PGM_RSRC2:TGID_Z_EN: 0
; COMPUTE_PGM_RSRC2:TIDIG_COMP_CNT: 0
; COMPUTE_PGM_RSRC3_GFX90A:ACCUM_OFFSET: 6
; COMPUTE_PGM_RSRC3_GFX90A:TG_SPLIT: 0
	.section	.text._Z28segmented_warp_reduce_kernelInhLj37ELj100EEvPKT_PT0_PS0_,"axG",@progbits,_Z28segmented_warp_reduce_kernelInhLj37ELj100EEvPKT_PT0_PS0_,comdat
	.protected	_Z28segmented_warp_reduce_kernelInhLj37ELj100EEvPKT_PT0_PS0_ ; -- Begin function _Z28segmented_warp_reduce_kernelInhLj37ELj100EEvPKT_PT0_PS0_
	.globl	_Z28segmented_warp_reduce_kernelInhLj37ELj100EEvPKT_PT0_PS0_
	.p2align	8
	.type	_Z28segmented_warp_reduce_kernelInhLj37ELj100EEvPKT_PT0_PS0_,@function
_Z28segmented_warp_reduce_kernelInhLj37ELj100EEvPKT_PT0_PS0_: ; @_Z28segmented_warp_reduce_kernelInhLj37ELj100EEvPKT_PT0_PS0_
; %bb.0:
	s_load_dword s2, s[4:5], 0x24
	s_load_dwordx4 s[8:11], s[4:5], 0x0
	s_load_dwordx2 s[0:1], s[4:5], 0x10
	v_mov_b32_e32 v1, 0
	v_mbcnt_lo_u32_b32 v6, -1, 0
	s_waitcnt lgkmcnt(0)
	s_and_b32 s2, s2, 0xffff
	s_mul_i32 s6, s6, s2
	v_add_u32_e32 v0, s6, v0
	v_lshlrev_b64 v[4:5], 4, v[0:1]
	v_mov_b32_e32 v1, s9
	global_load_ubyte v16, v0, s[10:11]
	v_add_co_u32_e32 v0, vcc, s8, v4
	v_addc_co_u32_e32 v1, vcc, v1, v5, vcc
	global_load_dwordx4 v[0:3], v[0:1], off
	v_mbcnt_hi_u32_b32 v8, -1, v6
	s_mov_b32 s2, 0x6eb3e46
	v_mul_hi_u32 v6, v8, s2
	v_mul_u32_u24_e32 v6, 37, v6
	v_sub_u32_e32 v7, v8, v6
	v_lshlrev_b64 v[8:9], v8, -1
	v_lshlrev_b32_e32 v10, 4, v7
	v_add_u32_e32 v11, 2, v7
	v_add_u32_e32 v12, 4, v7
	;; [unrolled: 1-line block ×5, first 2 shown]
	s_movk_i32 s4, 0x64
	s_waitcnt vmcnt(1)
	v_cmp_ne_u16_e32 vcc, 0, v16
	v_cndmask_b32_e64 v16, 0, 1, vcc
	s_branch .LBB89_2
.LBB89_1:                               ;   in Loop: Header=BB89_2 Depth=1
	s_or_b64 exec, exec, s[2:3]
	s_add_i32 s4, s4, -1
	s_cmp_eq_u32 s4, 0
	; wave barrier
	s_cbranch_scc1 .LBB89_14
.LBB89_2:                               ; =>This Inner Loop Header: Depth=1
	v_cmp_ne_u32_e32 vcc, 0, v16
	s_lshr_b64 s[2:3], vcc, 1
	v_and_b32_e32 v19, s3, v9
	v_and_b32_e32 v18, s2, v8
	v_lshrrev_b64 v[18:19], v6, v[18:19]
	v_or_b32_e32 v17, 16, v19
	v_ffbl_b32_e32 v17, v17
	v_add_u32_e32 v17, 32, v17
	v_ffbl_b32_e32 v18, v18
	v_min_u32_e32 v17, v18, v17
	v_cmp_lt_u32_e32 vcc, v7, v17
	s_waitcnt vmcnt(0)
	ds_write_b128 v10, v[0:3]
	; wave barrier
	s_and_saveexec_b64 s[2:3], vcc
	s_cbranch_execz .LBB89_4
; %bb.3:                                ;   in Loop: Header=BB89_2 Depth=1
	ds_read_b128 v[18:21], v10 offset:16
	s_waitcnt lgkmcnt(0)
	v_add_co_u32_e32 v0, vcc, v18, v0
	v_addc_co_u32_e32 v1, vcc, v19, v1, vcc
	v_addc_co_u32_e32 v2, vcc, v20, v2, vcc
	v_addc_co_u32_e32 v3, vcc, v21, v3, vcc
.LBB89_4:                               ;   in Loop: Header=BB89_2 Depth=1
	s_or_b64 exec, exec, s[2:3]
	v_cmp_le_u32_e32 vcc, v11, v17
	; wave barrier
	ds_write_b128 v10, v[0:3]
	; wave barrier
	s_and_saveexec_b64 s[2:3], vcc
	s_cbranch_execz .LBB89_6
; %bb.5:                                ;   in Loop: Header=BB89_2 Depth=1
	ds_read_b128 v[18:21], v10 offset:32
	s_waitcnt lgkmcnt(0)
	v_add_co_u32_e32 v0, vcc, v18, v0
	v_addc_co_u32_e32 v1, vcc, v19, v1, vcc
	v_addc_co_u32_e32 v2, vcc, v20, v2, vcc
	v_addc_co_u32_e32 v3, vcc, v21, v3, vcc
.LBB89_6:                               ;   in Loop: Header=BB89_2 Depth=1
	s_or_b64 exec, exec, s[2:3]
	v_cmp_le_u32_e32 vcc, v12, v17
	; wave barrier
	;; [unrolled: 15-line block ×3, first 2 shown]
	ds_write_b128 v10, v[0:3]
	; wave barrier
	s_and_saveexec_b64 s[2:3], vcc
	s_cbranch_execz .LBB89_10
; %bb.9:                                ;   in Loop: Header=BB89_2 Depth=1
	ds_read_b128 v[18:21], v10 offset:128
	s_waitcnt lgkmcnt(0)
	v_add_co_u32_e32 v0, vcc, v18, v0
	v_addc_co_u32_e32 v1, vcc, v19, v1, vcc
	v_addc_co_u32_e32 v2, vcc, v20, v2, vcc
	;; [unrolled: 1-line block ×3, first 2 shown]
.LBB89_10:                              ;   in Loop: Header=BB89_2 Depth=1
	s_or_b64 exec, exec, s[2:3]
	v_cmp_le_u32_e32 vcc, v14, v17
	; wave barrier
	ds_write_b128 v10, v[0:3]
	; wave barrier
	s_and_saveexec_b64 s[2:3], vcc
	s_cbranch_execz .LBB89_12
; %bb.11:                               ;   in Loop: Header=BB89_2 Depth=1
	ds_read_b128 v[18:21], v10 offset:256
	s_waitcnt lgkmcnt(0)
	v_add_co_u32_e32 v0, vcc, v18, v0
	v_addc_co_u32_e32 v1, vcc, v19, v1, vcc
	v_addc_co_u32_e32 v2, vcc, v20, v2, vcc
	;; [unrolled: 1-line block ×3, first 2 shown]
.LBB89_12:                              ;   in Loop: Header=BB89_2 Depth=1
	s_or_b64 exec, exec, s[2:3]
	v_cmp_le_u32_e32 vcc, v15, v17
	; wave barrier
	ds_write_b128 v10, v[0:3]
	; wave barrier
	s_and_saveexec_b64 s[2:3], vcc
	s_cbranch_execz .LBB89_1
; %bb.13:                               ;   in Loop: Header=BB89_2 Depth=1
	ds_read_b128 v[18:21], v10 offset:512
	s_waitcnt lgkmcnt(0)
	v_add_co_u32_e32 v0, vcc, v18, v0
	v_addc_co_u32_e32 v1, vcc, v19, v1, vcc
	v_addc_co_u32_e32 v2, vcc, v20, v2, vcc
	;; [unrolled: 1-line block ×3, first 2 shown]
	s_branch .LBB89_1
.LBB89_14:
	v_mov_b32_e32 v6, s1
	v_add_co_u32_e32 v4, vcc, s0, v4
	v_addc_co_u32_e32 v5, vcc, v6, v5, vcc
	global_store_dwordx4 v[4:5], v[0:3], off
	s_endpgm
	.section	.rodata,"a",@progbits
	.p2align	6, 0x0
	.amdhsa_kernel _Z28segmented_warp_reduce_kernelInhLj37ELj100EEvPKT_PT0_PS0_
		.amdhsa_group_segment_fixed_size 592
		.amdhsa_private_segment_fixed_size 0
		.amdhsa_kernarg_size 280
		.amdhsa_user_sgpr_count 6
		.amdhsa_user_sgpr_private_segment_buffer 1
		.amdhsa_user_sgpr_dispatch_ptr 0
		.amdhsa_user_sgpr_queue_ptr 0
		.amdhsa_user_sgpr_kernarg_segment_ptr 1
		.amdhsa_user_sgpr_dispatch_id 0
		.amdhsa_user_sgpr_flat_scratch_init 0
		.amdhsa_user_sgpr_kernarg_preload_length 0
		.amdhsa_user_sgpr_kernarg_preload_offset 0
		.amdhsa_user_sgpr_private_segment_size 0
		.amdhsa_uses_dynamic_stack 0
		.amdhsa_system_sgpr_private_segment_wavefront_offset 0
		.amdhsa_system_sgpr_workgroup_id_x 1
		.amdhsa_system_sgpr_workgroup_id_y 0
		.amdhsa_system_sgpr_workgroup_id_z 0
		.amdhsa_system_sgpr_workgroup_info 0
		.amdhsa_system_vgpr_workitem_id 0
		.amdhsa_next_free_vgpr 22
		.amdhsa_next_free_sgpr 12
		.amdhsa_accum_offset 24
		.amdhsa_reserve_vcc 1
		.amdhsa_reserve_flat_scratch 0
		.amdhsa_float_round_mode_32 0
		.amdhsa_float_round_mode_16_64 0
		.amdhsa_float_denorm_mode_32 3
		.amdhsa_float_denorm_mode_16_64 3
		.amdhsa_dx10_clamp 1
		.amdhsa_ieee_mode 1
		.amdhsa_fp16_overflow 0
		.amdhsa_tg_split 0
		.amdhsa_exception_fp_ieee_invalid_op 0
		.amdhsa_exception_fp_denorm_src 0
		.amdhsa_exception_fp_ieee_div_zero 0
		.amdhsa_exception_fp_ieee_overflow 0
		.amdhsa_exception_fp_ieee_underflow 0
		.amdhsa_exception_fp_ieee_inexact 0
		.amdhsa_exception_int_div_zero 0
	.end_amdhsa_kernel
	.section	.text._Z28segmented_warp_reduce_kernelInhLj37ELj100EEvPKT_PT0_PS0_,"axG",@progbits,_Z28segmented_warp_reduce_kernelInhLj37ELj100EEvPKT_PT0_PS0_,comdat
.Lfunc_end89:
	.size	_Z28segmented_warp_reduce_kernelInhLj37ELj100EEvPKT_PT0_PS0_, .Lfunc_end89-_Z28segmented_warp_reduce_kernelInhLj37ELj100EEvPKT_PT0_PS0_
                                        ; -- End function
	.section	.AMDGPU.csdata,"",@progbits
; Kernel info:
; codeLenInByte = 580
; NumSgprs: 16
; NumVgprs: 22
; NumAgprs: 0
; TotalNumVgprs: 22
; ScratchSize: 0
; MemoryBound: 0
; FloatMode: 240
; IeeeMode: 1
; LDSByteSize: 592 bytes/workgroup (compile time only)
; SGPRBlocks: 1
; VGPRBlocks: 2
; NumSGPRsForWavesPerEU: 16
; NumVGPRsForWavesPerEU: 22
; AccumOffset: 24
; Occupancy: 8
; WaveLimiterHint : 0
; COMPUTE_PGM_RSRC2:SCRATCH_EN: 0
; COMPUTE_PGM_RSRC2:USER_SGPR: 6
; COMPUTE_PGM_RSRC2:TRAP_HANDLER: 0
; COMPUTE_PGM_RSRC2:TGID_X_EN: 1
; COMPUTE_PGM_RSRC2:TGID_Y_EN: 0
; COMPUTE_PGM_RSRC2:TGID_Z_EN: 0
; COMPUTE_PGM_RSRC2:TIDIG_COMP_CNT: 0
; COMPUTE_PGM_RSRC3_GFX90A:ACCUM_OFFSET: 5
; COMPUTE_PGM_RSRC3_GFX90A:TG_SPLIT: 0
	.section	.text._Z28segmented_warp_reduce_kernelInhLj61ELj100EEvPKT_PT0_PS0_,"axG",@progbits,_Z28segmented_warp_reduce_kernelInhLj61ELj100EEvPKT_PT0_PS0_,comdat
	.protected	_Z28segmented_warp_reduce_kernelInhLj61ELj100EEvPKT_PT0_PS0_ ; -- Begin function _Z28segmented_warp_reduce_kernelInhLj61ELj100EEvPKT_PT0_PS0_
	.globl	_Z28segmented_warp_reduce_kernelInhLj61ELj100EEvPKT_PT0_PS0_
	.p2align	8
	.type	_Z28segmented_warp_reduce_kernelInhLj61ELj100EEvPKT_PT0_PS0_,@function
_Z28segmented_warp_reduce_kernelInhLj61ELj100EEvPKT_PT0_PS0_: ; @_Z28segmented_warp_reduce_kernelInhLj61ELj100EEvPKT_PT0_PS0_
; %bb.0:
	s_load_dword s2, s[4:5], 0x24
	s_load_dwordx4 s[8:11], s[4:5], 0x0
	s_load_dwordx2 s[0:1], s[4:5], 0x10
	v_mov_b32_e32 v1, 0
	v_mbcnt_lo_u32_b32 v6, -1, 0
	s_waitcnt lgkmcnt(0)
	s_and_b32 s2, s2, 0xffff
	s_mul_i32 s6, s6, s2
	v_add_u32_e32 v0, s6, v0
	v_lshlrev_b64 v[4:5], 4, v[0:1]
	v_mov_b32_e32 v1, s9
	global_load_ubyte v16, v0, s[10:11]
	v_add_co_u32_e32 v0, vcc, s8, v4
	v_addc_co_u32_e32 v1, vcc, v1, v5, vcc
	global_load_dwordx4 v[0:3], v[0:1], off
	v_mbcnt_hi_u32_b32 v8, -1, v6
	s_mov_b32 s2, 0x4325c54
	v_mul_hi_u32 v6, v8, s2
	v_mul_u32_u24_e32 v6, 61, v6
	v_sub_u32_e32 v7, v8, v6
	v_lshlrev_b64 v[8:9], v8, -1
	v_lshlrev_b32_e32 v10, 4, v7
	v_add_u32_e32 v11, 2, v7
	v_add_u32_e32 v12, 4, v7
	;; [unrolled: 1-line block ×5, first 2 shown]
	s_movk_i32 s4, 0x64
	s_waitcnt vmcnt(1)
	v_cmp_ne_u16_e32 vcc, 0, v16
	v_cndmask_b32_e64 v16, 0, 1, vcc
	s_branch .LBB90_2
.LBB90_1:                               ;   in Loop: Header=BB90_2 Depth=1
	s_or_b64 exec, exec, s[2:3]
	s_add_i32 s4, s4, -1
	s_cmp_eq_u32 s4, 0
	; wave barrier
	s_cbranch_scc1 .LBB90_14
.LBB90_2:                               ; =>This Inner Loop Header: Depth=1
	v_cmp_ne_u32_e32 vcc, 0, v16
	s_lshr_b64 s[2:3], vcc, 1
	v_and_b32_e32 v19, s3, v9
	v_and_b32_e32 v18, s2, v8
	v_lshrrev_b64 v[18:19], v6, v[18:19]
	v_or_b32_e32 v17, 0x10000000, v19
	v_ffbl_b32_e32 v17, v17
	v_add_u32_e32 v17, 32, v17
	v_ffbl_b32_e32 v18, v18
	v_min_u32_e32 v17, v18, v17
	v_cmp_lt_u32_e32 vcc, v7, v17
	s_waitcnt vmcnt(0)
	ds_write_b128 v10, v[0:3]
	; wave barrier
	s_and_saveexec_b64 s[2:3], vcc
	s_cbranch_execz .LBB90_4
; %bb.3:                                ;   in Loop: Header=BB90_2 Depth=1
	ds_read_b128 v[18:21], v10 offset:16
	s_waitcnt lgkmcnt(0)
	v_add_co_u32_e32 v0, vcc, v18, v0
	v_addc_co_u32_e32 v1, vcc, v19, v1, vcc
	v_addc_co_u32_e32 v2, vcc, v20, v2, vcc
	v_addc_co_u32_e32 v3, vcc, v21, v3, vcc
.LBB90_4:                               ;   in Loop: Header=BB90_2 Depth=1
	s_or_b64 exec, exec, s[2:3]
	v_cmp_le_u32_e32 vcc, v11, v17
	; wave barrier
	ds_write_b128 v10, v[0:3]
	; wave barrier
	s_and_saveexec_b64 s[2:3], vcc
	s_cbranch_execz .LBB90_6
; %bb.5:                                ;   in Loop: Header=BB90_2 Depth=1
	ds_read_b128 v[18:21], v10 offset:32
	s_waitcnt lgkmcnt(0)
	v_add_co_u32_e32 v0, vcc, v18, v0
	v_addc_co_u32_e32 v1, vcc, v19, v1, vcc
	v_addc_co_u32_e32 v2, vcc, v20, v2, vcc
	v_addc_co_u32_e32 v3, vcc, v21, v3, vcc
.LBB90_6:                               ;   in Loop: Header=BB90_2 Depth=1
	s_or_b64 exec, exec, s[2:3]
	v_cmp_le_u32_e32 vcc, v12, v17
	; wave barrier
	;; [unrolled: 15-line block ×3, first 2 shown]
	ds_write_b128 v10, v[0:3]
	; wave barrier
	s_and_saveexec_b64 s[2:3], vcc
	s_cbranch_execz .LBB90_10
; %bb.9:                                ;   in Loop: Header=BB90_2 Depth=1
	ds_read_b128 v[18:21], v10 offset:128
	s_waitcnt lgkmcnt(0)
	v_add_co_u32_e32 v0, vcc, v18, v0
	v_addc_co_u32_e32 v1, vcc, v19, v1, vcc
	v_addc_co_u32_e32 v2, vcc, v20, v2, vcc
	;; [unrolled: 1-line block ×3, first 2 shown]
.LBB90_10:                              ;   in Loop: Header=BB90_2 Depth=1
	s_or_b64 exec, exec, s[2:3]
	v_cmp_le_u32_e32 vcc, v14, v17
	; wave barrier
	ds_write_b128 v10, v[0:3]
	; wave barrier
	s_and_saveexec_b64 s[2:3], vcc
	s_cbranch_execz .LBB90_12
; %bb.11:                               ;   in Loop: Header=BB90_2 Depth=1
	ds_read_b128 v[18:21], v10 offset:256
	s_waitcnt lgkmcnt(0)
	v_add_co_u32_e32 v0, vcc, v18, v0
	v_addc_co_u32_e32 v1, vcc, v19, v1, vcc
	v_addc_co_u32_e32 v2, vcc, v20, v2, vcc
	;; [unrolled: 1-line block ×3, first 2 shown]
.LBB90_12:                              ;   in Loop: Header=BB90_2 Depth=1
	s_or_b64 exec, exec, s[2:3]
	v_cmp_le_u32_e32 vcc, v15, v17
	; wave barrier
	ds_write_b128 v10, v[0:3]
	; wave barrier
	s_and_saveexec_b64 s[2:3], vcc
	s_cbranch_execz .LBB90_1
; %bb.13:                               ;   in Loop: Header=BB90_2 Depth=1
	ds_read_b128 v[18:21], v10 offset:512
	s_waitcnt lgkmcnt(0)
	v_add_co_u32_e32 v0, vcc, v18, v0
	v_addc_co_u32_e32 v1, vcc, v19, v1, vcc
	v_addc_co_u32_e32 v2, vcc, v20, v2, vcc
	;; [unrolled: 1-line block ×3, first 2 shown]
	s_branch .LBB90_1
.LBB90_14:
	v_mov_b32_e32 v6, s1
	v_add_co_u32_e32 v4, vcc, s0, v4
	v_addc_co_u32_e32 v5, vcc, v6, v5, vcc
	global_store_dwordx4 v[4:5], v[0:3], off
	s_endpgm
	.section	.rodata,"a",@progbits
	.p2align	6, 0x0
	.amdhsa_kernel _Z28segmented_warp_reduce_kernelInhLj61ELj100EEvPKT_PT0_PS0_
		.amdhsa_group_segment_fixed_size 976
		.amdhsa_private_segment_fixed_size 0
		.amdhsa_kernarg_size 280
		.amdhsa_user_sgpr_count 6
		.amdhsa_user_sgpr_private_segment_buffer 1
		.amdhsa_user_sgpr_dispatch_ptr 0
		.amdhsa_user_sgpr_queue_ptr 0
		.amdhsa_user_sgpr_kernarg_segment_ptr 1
		.amdhsa_user_sgpr_dispatch_id 0
		.amdhsa_user_sgpr_flat_scratch_init 0
		.amdhsa_user_sgpr_kernarg_preload_length 0
		.amdhsa_user_sgpr_kernarg_preload_offset 0
		.amdhsa_user_sgpr_private_segment_size 0
		.amdhsa_uses_dynamic_stack 0
		.amdhsa_system_sgpr_private_segment_wavefront_offset 0
		.amdhsa_system_sgpr_workgroup_id_x 1
		.amdhsa_system_sgpr_workgroup_id_y 0
		.amdhsa_system_sgpr_workgroup_id_z 0
		.amdhsa_system_sgpr_workgroup_info 0
		.amdhsa_system_vgpr_workitem_id 0
		.amdhsa_next_free_vgpr 22
		.amdhsa_next_free_sgpr 12
		.amdhsa_accum_offset 24
		.amdhsa_reserve_vcc 1
		.amdhsa_reserve_flat_scratch 0
		.amdhsa_float_round_mode_32 0
		.amdhsa_float_round_mode_16_64 0
		.amdhsa_float_denorm_mode_32 3
		.amdhsa_float_denorm_mode_16_64 3
		.amdhsa_dx10_clamp 1
		.amdhsa_ieee_mode 1
		.amdhsa_fp16_overflow 0
		.amdhsa_tg_split 0
		.amdhsa_exception_fp_ieee_invalid_op 0
		.amdhsa_exception_fp_denorm_src 0
		.amdhsa_exception_fp_ieee_div_zero 0
		.amdhsa_exception_fp_ieee_overflow 0
		.amdhsa_exception_fp_ieee_underflow 0
		.amdhsa_exception_fp_ieee_inexact 0
		.amdhsa_exception_int_div_zero 0
	.end_amdhsa_kernel
	.section	.text._Z28segmented_warp_reduce_kernelInhLj61ELj100EEvPKT_PT0_PS0_,"axG",@progbits,_Z28segmented_warp_reduce_kernelInhLj61ELj100EEvPKT_PT0_PS0_,comdat
.Lfunc_end90:
	.size	_Z28segmented_warp_reduce_kernelInhLj61ELj100EEvPKT_PT0_PS0_, .Lfunc_end90-_Z28segmented_warp_reduce_kernelInhLj61ELj100EEvPKT_PT0_PS0_
                                        ; -- End function
	.section	.AMDGPU.csdata,"",@progbits
; Kernel info:
; codeLenInByte = 584
; NumSgprs: 16
; NumVgprs: 22
; NumAgprs: 0
; TotalNumVgprs: 22
; ScratchSize: 0
; MemoryBound: 0
; FloatMode: 240
; IeeeMode: 1
; LDSByteSize: 976 bytes/workgroup (compile time only)
; SGPRBlocks: 1
; VGPRBlocks: 2
; NumSGPRsForWavesPerEU: 16
; NumVGPRsForWavesPerEU: 22
; AccumOffset: 24
; Occupancy: 8
; WaveLimiterHint : 0
; COMPUTE_PGM_RSRC2:SCRATCH_EN: 0
; COMPUTE_PGM_RSRC2:USER_SGPR: 6
; COMPUTE_PGM_RSRC2:TRAP_HANDLER: 0
; COMPUTE_PGM_RSRC2:TGID_X_EN: 1
; COMPUTE_PGM_RSRC2:TGID_Y_EN: 0
; COMPUTE_PGM_RSRC2:TGID_Z_EN: 0
; COMPUTE_PGM_RSRC2:TIDIG_COMP_CNT: 0
; COMPUTE_PGM_RSRC3_GFX90A:ACCUM_OFFSET: 5
; COMPUTE_PGM_RSRC3_GFX90A:TG_SPLIT: 0
	.section	.text._Z28segmented_warp_reduce_kernelInhLj64ELj100EEvPKT_PT0_PS0_,"axG",@progbits,_Z28segmented_warp_reduce_kernelInhLj64ELj100EEvPKT_PT0_PS0_,comdat
	.protected	_Z28segmented_warp_reduce_kernelInhLj64ELj100EEvPKT_PT0_PS0_ ; -- Begin function _Z28segmented_warp_reduce_kernelInhLj64ELj100EEvPKT_PT0_PS0_
	.globl	_Z28segmented_warp_reduce_kernelInhLj64ELj100EEvPKT_PT0_PS0_
	.p2align	8
	.type	_Z28segmented_warp_reduce_kernelInhLj64ELj100EEvPKT_PT0_PS0_,@function
_Z28segmented_warp_reduce_kernelInhLj64ELj100EEvPKT_PT0_PS0_: ; @_Z28segmented_warp_reduce_kernelInhLj64ELj100EEvPKT_PT0_PS0_
; %bb.0:
	s_load_dword s2, s[4:5], 0x24
	s_load_dwordx4 s[8:11], s[4:5], 0x0
	s_load_dwordx2 s[0:1], s[4:5], 0x10
	v_mov_b32_e32 v1, 0
	v_mbcnt_lo_u32_b32 v6, -1, 0
	s_waitcnt lgkmcnt(0)
	s_and_b32 s2, s2, 0xffff
	s_mul_i32 s6, s6, s2
	v_add_u32_e32 v0, s6, v0
	v_lshlrev_b64 v[4:5], 4, v[0:1]
	v_mov_b32_e32 v1, s9
	global_load_ubyte v20, v0, s[10:11]
	v_add_co_u32_e32 v0, vcc, s8, v4
	v_addc_co_u32_e32 v1, vcc, v1, v5, vcc
	global_load_dwordx4 v[0:3], v[0:1], off
	v_mbcnt_hi_u32_b32 v19, -1, v6
	v_and_b32_e32 v18, 63, v19
	v_cmp_ne_u32_e32 vcc, 63, v18
	v_addc_co_u32_e32 v8, vcc, 0, v19, vcc
	v_cmp_gt_u32_e32 vcc, 62, v18
	v_cndmask_b32_e64 v10, 0, 1, vcc
	v_cmp_gt_u32_e32 vcc, 60, v18
	v_cndmask_b32_e64 v12, 0, 1, vcc
	;; [unrolled: 2-line block ×5, first 2 shown]
	v_lshlrev_b32_e32 v10, 1, v10
	v_lshlrev_b32_e32 v12, 2, v12
	;; [unrolled: 1-line block ×5, first 2 shown]
	v_lshlrev_b64 v[6:7], v19, -1
	v_lshlrev_b32_e32 v8, 2, v8
	v_add_u32_e32 v9, 1, v19
	v_add_lshl_u32 v10, v10, v19, 2
	v_add_u32_e32 v11, 2, v19
	v_add_lshl_u32 v12, v12, v19, 2
	;; [unrolled: 2-line block ×5, first 2 shown]
	v_add_u32_e32 v19, 32, v19
	s_movk_i32 s4, 0x64
	s_waitcnt vmcnt(1)
	v_cmp_ne_u16_e32 vcc, 0, v20
	v_cndmask_b32_e64 v20, 0, 1, vcc
	s_branch .LBB91_2
.LBB91_1:                               ;   in Loop: Header=BB91_2 Depth=1
	s_or_b64 exec, exec, s[2:3]
	s_add_i32 s4, s4, -1
	s_cmp_eq_u32 s4, 0
	s_cbranch_scc1 .LBB91_14
.LBB91_2:                               ; =>This Inner Loop Header: Depth=1
	v_cmp_ne_u32_e32 vcc, 0, v20
	s_lshr_b64 s[2:3], vcc, 1
	v_and_b32_e32 v21, s3, v7
	v_or_b32_e32 v21, 0x80000000, v21
	s_waitcnt vmcnt(0)
	ds_bpermute_b32 v27, v8, v0
	ds_bpermute_b32 v26, v8, v1
	s_waitcnt lgkmcnt(5)
	ds_bpermute_b32 v25, v8, v2
	s_waitcnt lgkmcnt(5)
	;; [unrolled: 2-line block ×3, first 2 shown]
	v_and_b32_e32 v22, s2, v6
	v_ffbl_b32_e32 v21, v21
	v_add_u32_e32 v21, 32, v21
	v_ffbl_b32_e32 v22, v22
	v_min_u32_e32 v21, v22, v21
	v_cmp_le_u32_e32 vcc, v9, v21
	v_mov_b32_e32 v23, v2
	v_mov_b32_e32 v22, v0
	s_and_saveexec_b64 s[2:3], vcc
	s_cbranch_execz .LBB91_4
; %bb.3:                                ;   in Loop: Header=BB91_2 Depth=1
	s_waitcnt lgkmcnt(3)
	v_add_co_u32_e32 v22, vcc, v0, v27
	v_addc_co_u32_e32 v1, vcc, 0, v1, vcc
	v_addc_co_u32_e32 v2, vcc, 0, v2, vcc
	v_addc_co_u32_e32 v3, vcc, 0, v3, vcc
	v_add_co_u32_e32 v0, vcc, 0, v22
	s_waitcnt lgkmcnt(2)
	v_addc_co_u32_e32 v1, vcc, v26, v1, vcc
	v_addc_co_u32_e32 v2, vcc, 0, v2, vcc
	v_addc_co_u32_e32 v3, vcc, 0, v3, vcc
	s_waitcnt lgkmcnt(1)
	v_add_co_u32_e32 v23, vcc, v2, v25
	v_addc_co_u32_e32 v3, vcc, 0, v3, vcc
	v_add_co_u32_e32 v2, vcc, 0, v23
	s_waitcnt lgkmcnt(0)
	v_addc_co_u32_e32 v3, vcc, v3, v24, vcc
.LBB91_4:                               ;   in Loop: Header=BB91_2 Depth=1
	s_or_b64 exec, exec, s[2:3]
	s_waitcnt lgkmcnt(3)
	ds_bpermute_b32 v27, v10, v22
	s_waitcnt lgkmcnt(3)
	ds_bpermute_b32 v26, v10, v1
	s_waitcnt lgkmcnt(3)
	ds_bpermute_b32 v25, v10, v23
	s_waitcnt lgkmcnt(3)
	ds_bpermute_b32 v24, v10, v3
	v_cmp_le_u32_e32 vcc, v11, v21
	s_and_saveexec_b64 s[2:3], vcc
	s_cbranch_execz .LBB91_6
; %bb.5:                                ;   in Loop: Header=BB91_2 Depth=1
	s_waitcnt lgkmcnt(3)
	v_add_co_u32_e32 v22, vcc, v0, v27
	v_addc_co_u32_e32 v1, vcc, 0, v1, vcc
	v_addc_co_u32_e32 v2, vcc, 0, v2, vcc
	v_addc_co_u32_e32 v3, vcc, 0, v3, vcc
	v_add_co_u32_e32 v0, vcc, 0, v22
	s_waitcnt lgkmcnt(2)
	v_addc_co_u32_e32 v1, vcc, v26, v1, vcc
	v_addc_co_u32_e32 v2, vcc, 0, v2, vcc
	v_addc_co_u32_e32 v3, vcc, 0, v3, vcc
	s_waitcnt lgkmcnt(1)
	v_add_co_u32_e32 v23, vcc, v2, v25
	v_addc_co_u32_e32 v3, vcc, 0, v3, vcc
	v_add_co_u32_e32 v2, vcc, 0, v23
	s_waitcnt lgkmcnt(0)
	v_addc_co_u32_e32 v3, vcc, v3, v24, vcc
.LBB91_6:                               ;   in Loop: Header=BB91_2 Depth=1
	s_or_b64 exec, exec, s[2:3]
	s_waitcnt lgkmcnt(3)
	ds_bpermute_b32 v27, v12, v22
	s_waitcnt lgkmcnt(3)
	ds_bpermute_b32 v26, v12, v1
	s_waitcnt lgkmcnt(3)
	ds_bpermute_b32 v25, v12, v23
	s_waitcnt lgkmcnt(3)
	ds_bpermute_b32 v24, v12, v3
	v_cmp_le_u32_e32 vcc, v13, v21
	;; [unrolled: 30-line block ×3, first 2 shown]
	s_and_saveexec_b64 s[2:3], vcc
	s_cbranch_execz .LBB91_10
; %bb.9:                                ;   in Loop: Header=BB91_2 Depth=1
	s_waitcnt lgkmcnt(3)
	v_add_co_u32_e32 v22, vcc, v0, v27
	v_addc_co_u32_e32 v1, vcc, 0, v1, vcc
	v_addc_co_u32_e32 v2, vcc, 0, v2, vcc
	v_addc_co_u32_e32 v3, vcc, 0, v3, vcc
	v_add_co_u32_e32 v0, vcc, 0, v22
	s_waitcnt lgkmcnt(2)
	v_addc_co_u32_e32 v1, vcc, v26, v1, vcc
	v_addc_co_u32_e32 v2, vcc, 0, v2, vcc
	;; [unrolled: 1-line block ×3, first 2 shown]
	s_waitcnt lgkmcnt(1)
	v_add_co_u32_e32 v23, vcc, v2, v25
	v_addc_co_u32_e32 v3, vcc, 0, v3, vcc
	v_add_co_u32_e32 v2, vcc, 0, v23
	s_waitcnt lgkmcnt(0)
	v_addc_co_u32_e32 v3, vcc, v3, v24, vcc
.LBB91_10:                              ;   in Loop: Header=BB91_2 Depth=1
	s_or_b64 exec, exec, s[2:3]
	s_waitcnt lgkmcnt(3)
	ds_bpermute_b32 v27, v16, v22
	s_waitcnt lgkmcnt(3)
	ds_bpermute_b32 v26, v16, v1
	;; [unrolled: 2-line block ×4, first 2 shown]
	v_cmp_le_u32_e32 vcc, v17, v21
	s_and_saveexec_b64 s[2:3], vcc
	s_cbranch_execz .LBB91_12
; %bb.11:                               ;   in Loop: Header=BB91_2 Depth=1
	s_waitcnt lgkmcnt(3)
	v_add_co_u32_e32 v22, vcc, v0, v27
	v_addc_co_u32_e32 v1, vcc, 0, v1, vcc
	v_addc_co_u32_e32 v2, vcc, 0, v2, vcc
	;; [unrolled: 1-line block ×3, first 2 shown]
	v_add_co_u32_e32 v0, vcc, 0, v22
	s_waitcnt lgkmcnt(2)
	v_addc_co_u32_e32 v1, vcc, v26, v1, vcc
	v_addc_co_u32_e32 v2, vcc, 0, v2, vcc
	;; [unrolled: 1-line block ×3, first 2 shown]
	s_waitcnt lgkmcnt(1)
	v_add_co_u32_e32 v23, vcc, v2, v25
	v_addc_co_u32_e32 v3, vcc, 0, v3, vcc
	v_add_co_u32_e32 v2, vcc, 0, v23
	s_waitcnt lgkmcnt(0)
	v_addc_co_u32_e32 v3, vcc, v3, v24, vcc
.LBB91_12:                              ;   in Loop: Header=BB91_2 Depth=1
	s_or_b64 exec, exec, s[2:3]
	s_waitcnt lgkmcnt(1)
	ds_bpermute_b32 v25, v18, v22
	s_waitcnt lgkmcnt(1)
	ds_bpermute_b32 v24, v18, v1
	ds_bpermute_b32 v23, v18, v23
	;; [unrolled: 1-line block ×3, first 2 shown]
	v_cmp_le_u32_e32 vcc, v19, v21
	s_and_saveexec_b64 s[2:3], vcc
	s_cbranch_execz .LBB91_1
; %bb.13:                               ;   in Loop: Header=BB91_2 Depth=1
	s_waitcnt lgkmcnt(3)
	v_add_co_u32_e32 v0, vcc, v0, v25
	v_addc_co_u32_e32 v1, vcc, 0, v1, vcc
	v_addc_co_u32_e32 v2, vcc, 0, v2, vcc
	;; [unrolled: 1-line block ×3, first 2 shown]
	v_add_co_u32_e32 v0, vcc, 0, v0
	s_waitcnt lgkmcnt(2)
	v_addc_co_u32_e32 v1, vcc, v1, v24, vcc
	v_addc_co_u32_e32 v2, vcc, 0, v2, vcc
	;; [unrolled: 1-line block ×3, first 2 shown]
	s_waitcnt lgkmcnt(1)
	v_add_co_u32_e32 v2, vcc, v2, v23
	v_addc_co_u32_e32 v3, vcc, 0, v3, vcc
	v_add_co_u32_e32 v2, vcc, 0, v2
	s_waitcnt lgkmcnt(0)
	v_addc_co_u32_e32 v3, vcc, v3, v22, vcc
	s_branch .LBB91_1
.LBB91_14:
	v_mov_b32_e32 v6, s1
	v_add_co_u32_e32 v4, vcc, s0, v4
	v_addc_co_u32_e32 v5, vcc, v6, v5, vcc
	global_store_dwordx4 v[4:5], v[0:3], off
	s_endpgm
	.section	.rodata,"a",@progbits
	.p2align	6, 0x0
	.amdhsa_kernel _Z28segmented_warp_reduce_kernelInhLj64ELj100EEvPKT_PT0_PS0_
		.amdhsa_group_segment_fixed_size 0
		.amdhsa_private_segment_fixed_size 0
		.amdhsa_kernarg_size 280
		.amdhsa_user_sgpr_count 6
		.amdhsa_user_sgpr_private_segment_buffer 1
		.amdhsa_user_sgpr_dispatch_ptr 0
		.amdhsa_user_sgpr_queue_ptr 0
		.amdhsa_user_sgpr_kernarg_segment_ptr 1
		.amdhsa_user_sgpr_dispatch_id 0
		.amdhsa_user_sgpr_flat_scratch_init 0
		.amdhsa_user_sgpr_kernarg_preload_length 0
		.amdhsa_user_sgpr_kernarg_preload_offset 0
		.amdhsa_user_sgpr_private_segment_size 0
		.amdhsa_uses_dynamic_stack 0
		.amdhsa_system_sgpr_private_segment_wavefront_offset 0
		.amdhsa_system_sgpr_workgroup_id_x 1
		.amdhsa_system_sgpr_workgroup_id_y 0
		.amdhsa_system_sgpr_workgroup_id_z 0
		.amdhsa_system_sgpr_workgroup_info 0
		.amdhsa_system_vgpr_workitem_id 0
		.amdhsa_next_free_vgpr 28
		.amdhsa_next_free_sgpr 12
		.amdhsa_accum_offset 28
		.amdhsa_reserve_vcc 1
		.amdhsa_reserve_flat_scratch 0
		.amdhsa_float_round_mode_32 0
		.amdhsa_float_round_mode_16_64 0
		.amdhsa_float_denorm_mode_32 3
		.amdhsa_float_denorm_mode_16_64 3
		.amdhsa_dx10_clamp 1
		.amdhsa_ieee_mode 1
		.amdhsa_fp16_overflow 0
		.amdhsa_tg_split 0
		.amdhsa_exception_fp_ieee_invalid_op 0
		.amdhsa_exception_fp_denorm_src 0
		.amdhsa_exception_fp_ieee_div_zero 0
		.amdhsa_exception_fp_ieee_overflow 0
		.amdhsa_exception_fp_ieee_underflow 0
		.amdhsa_exception_fp_ieee_inexact 0
		.amdhsa_exception_int_div_zero 0
	.end_amdhsa_kernel
	.section	.text._Z28segmented_warp_reduce_kernelInhLj64ELj100EEvPKT_PT0_PS0_,"axG",@progbits,_Z28segmented_warp_reduce_kernelInhLj64ELj100EEvPKT_PT0_PS0_,comdat
.Lfunc_end91:
	.size	_Z28segmented_warp_reduce_kernelInhLj64ELj100EEvPKT_PT0_PS0_, .Lfunc_end91-_Z28segmented_warp_reduce_kernelInhLj64ELj100EEvPKT_PT0_PS0_
                                        ; -- End function
	.section	.AMDGPU.csdata,"",@progbits
; Kernel info:
; codeLenInByte = 1140
; NumSgprs: 16
; NumVgprs: 28
; NumAgprs: 0
; TotalNumVgprs: 28
; ScratchSize: 0
; MemoryBound: 0
; FloatMode: 240
; IeeeMode: 1
; LDSByteSize: 0 bytes/workgroup (compile time only)
; SGPRBlocks: 1
; VGPRBlocks: 3
; NumSGPRsForWavesPerEU: 16
; NumVGPRsForWavesPerEU: 28
; AccumOffset: 28
; Occupancy: 8
; WaveLimiterHint : 0
; COMPUTE_PGM_RSRC2:SCRATCH_EN: 0
; COMPUTE_PGM_RSRC2:USER_SGPR: 6
; COMPUTE_PGM_RSRC2:TRAP_HANDLER: 0
; COMPUTE_PGM_RSRC2:TGID_X_EN: 1
; COMPUTE_PGM_RSRC2:TGID_Y_EN: 0
; COMPUTE_PGM_RSRC2:TGID_Z_EN: 0
; COMPUTE_PGM_RSRC2:TIDIG_COMP_CNT: 0
; COMPUTE_PGM_RSRC3_GFX90A:ACCUM_OFFSET: 6
; COMPUTE_PGM_RSRC3_GFX90A:TG_SPLIT: 0
	.section	.text._Z28segmented_warp_reduce_kernelIohLj32ELj100EEvPKT_PT0_PS0_,"axG",@progbits,_Z28segmented_warp_reduce_kernelIohLj32ELj100EEvPKT_PT0_PS0_,comdat
	.protected	_Z28segmented_warp_reduce_kernelIohLj32ELj100EEvPKT_PT0_PS0_ ; -- Begin function _Z28segmented_warp_reduce_kernelIohLj32ELj100EEvPKT_PT0_PS0_
	.globl	_Z28segmented_warp_reduce_kernelIohLj32ELj100EEvPKT_PT0_PS0_
	.p2align	8
	.type	_Z28segmented_warp_reduce_kernelIohLj32ELj100EEvPKT_PT0_PS0_,@function
_Z28segmented_warp_reduce_kernelIohLj32ELj100EEvPKT_PT0_PS0_: ; @_Z28segmented_warp_reduce_kernelIohLj32ELj100EEvPKT_PT0_PS0_
; %bb.0:
	s_load_dword s2, s[4:5], 0x24
	s_load_dwordx4 s[8:11], s[4:5], 0x0
	s_load_dwordx2 s[0:1], s[4:5], 0x10
	v_mov_b32_e32 v1, 0
	v_mbcnt_lo_u32_b32 v6, -1, 0
	s_waitcnt lgkmcnt(0)
	s_and_b32 s2, s2, 0xffff
	s_mul_i32 s6, s6, s2
	v_add_u32_e32 v0, s6, v0
	v_lshlrev_b64 v[4:5], 4, v[0:1]
	v_mov_b32_e32 v1, s9
	global_load_ubyte v19, v0, s[10:11]
	v_add_co_u32_e32 v0, vcc, s8, v4
	v_addc_co_u32_e32 v1, vcc, v1, v5, vcc
	global_load_dwordx4 v[0:3], v[0:1], off
	v_mbcnt_hi_u32_b32 v18, -1, v6
	v_and_b32_e32 v9, 31, v18
	v_cmp_ne_u32_e32 vcc, 31, v9
	v_addc_co_u32_e32 v10, vcc, 0, v18, vcc
	v_cmp_gt_u32_e32 vcc, 30, v9
	v_cndmask_b32_e64 v12, 0, 1, vcc
	v_cmp_gt_u32_e32 vcc, 28, v9
	v_cndmask_b32_e64 v14, 0, 1, vcc
	;; [unrolled: 2-line block ×4, first 2 shown]
	v_lshlrev_b32_e32 v12, 1, v12
	v_lshlrev_b32_e32 v14, 2, v14
	v_lshlrev_b32_e32 v16, 3, v16
	v_lshlrev_b32_e32 v20, 4, v20
	v_lshlrev_b64 v[6:7], v18, -1
	v_and_b32_e32 v8, 0x60, v18
	v_lshlrev_b32_e32 v10, 2, v10
	v_add_u32_e32 v11, 2, v9
	v_add_lshl_u32 v12, v12, v18, 2
	v_add_u32_e32 v13, 4, v9
	v_add_lshl_u32 v14, v14, v18, 2
	;; [unrolled: 2-line block ×4, first 2 shown]
	s_movk_i32 s4, 0x64
	s_waitcnt vmcnt(1)
	v_cmp_ne_u16_e32 vcc, 0, v19
	v_cndmask_b32_e64 v19, 0, 1, vcc
	s_branch .LBB92_2
.LBB92_1:                               ;   in Loop: Header=BB92_2 Depth=1
	s_or_b64 exec, exec, s[2:3]
	s_add_i32 s4, s4, -1
	s_cmp_eq_u32 s4, 0
	s_cbranch_scc1 .LBB92_12
.LBB92_2:                               ; =>This Inner Loop Header: Depth=1
	v_cmp_ne_u32_e32 vcc, 0, v19
	s_lshr_b64 s[2:3], vcc, 1
	s_waitcnt lgkmcnt(0)
	v_and_b32_e32 v21, s3, v7
	v_and_b32_e32 v20, s2, v6
	v_lshrrev_b64 v[20:21], v8, v[20:21]
	s_waitcnt vmcnt(0)
	ds_bpermute_b32 v26, v10, v0
	ds_bpermute_b32 v25, v10, v1
	;; [unrolled: 1-line block ×4, first 2 shown]
	v_or_b32_e32 v20, 0x80000000, v20
	v_ffbl_b32_e32 v21, v21
	v_add_u32_e32 v21, 32, v21
	v_ffbl_b32_e32 v20, v20
	v_min_u32_e32 v20, v20, v21
	v_cmp_lt_u32_e32 vcc, v9, v20
	v_mov_b32_e32 v22, v2
	v_mov_b32_e32 v21, v0
	s_and_saveexec_b64 s[2:3], vcc
	s_cbranch_execz .LBB92_4
; %bb.3:                                ;   in Loop: Header=BB92_2 Depth=1
	s_waitcnt lgkmcnt(3)
	v_add_co_u32_e32 v21, vcc, v0, v26
	v_addc_co_u32_e32 v1, vcc, 0, v1, vcc
	v_addc_co_u32_e32 v2, vcc, 0, v2, vcc
	v_addc_co_u32_e32 v3, vcc, 0, v3, vcc
	v_add_co_u32_e32 v0, vcc, 0, v21
	s_waitcnt lgkmcnt(2)
	v_addc_co_u32_e32 v1, vcc, v25, v1, vcc
	v_addc_co_u32_e32 v2, vcc, 0, v2, vcc
	v_addc_co_u32_e32 v3, vcc, 0, v3, vcc
	s_waitcnt lgkmcnt(1)
	v_add_co_u32_e32 v22, vcc, v2, v24
	v_addc_co_u32_e32 v3, vcc, 0, v3, vcc
	v_add_co_u32_e32 v2, vcc, 0, v22
	s_waitcnt lgkmcnt(0)
	v_addc_co_u32_e32 v3, vcc, v3, v23, vcc
.LBB92_4:                               ;   in Loop: Header=BB92_2 Depth=1
	s_or_b64 exec, exec, s[2:3]
	s_waitcnt lgkmcnt(3)
	ds_bpermute_b32 v26, v12, v21
	s_waitcnt lgkmcnt(3)
	ds_bpermute_b32 v25, v12, v1
	s_waitcnt lgkmcnt(3)
	ds_bpermute_b32 v24, v12, v22
	s_waitcnt lgkmcnt(3)
	ds_bpermute_b32 v23, v12, v3
	v_cmp_le_u32_e32 vcc, v11, v20
	s_and_saveexec_b64 s[2:3], vcc
	s_cbranch_execz .LBB92_6
; %bb.5:                                ;   in Loop: Header=BB92_2 Depth=1
	s_waitcnt lgkmcnt(3)
	v_add_co_u32_e32 v21, vcc, v0, v26
	v_addc_co_u32_e32 v1, vcc, 0, v1, vcc
	v_addc_co_u32_e32 v2, vcc, 0, v2, vcc
	v_addc_co_u32_e32 v3, vcc, 0, v3, vcc
	v_add_co_u32_e32 v0, vcc, 0, v21
	s_waitcnt lgkmcnt(2)
	v_addc_co_u32_e32 v1, vcc, v25, v1, vcc
	v_addc_co_u32_e32 v2, vcc, 0, v2, vcc
	v_addc_co_u32_e32 v3, vcc, 0, v3, vcc
	s_waitcnt lgkmcnt(1)
	v_add_co_u32_e32 v22, vcc, v2, v24
	v_addc_co_u32_e32 v3, vcc, 0, v3, vcc
	v_add_co_u32_e32 v2, vcc, 0, v22
	s_waitcnt lgkmcnt(0)
	v_addc_co_u32_e32 v3, vcc, v3, v23, vcc
.LBB92_6:                               ;   in Loop: Header=BB92_2 Depth=1
	s_or_b64 exec, exec, s[2:3]
	s_waitcnt lgkmcnt(3)
	ds_bpermute_b32 v26, v14, v21
	s_waitcnt lgkmcnt(3)
	ds_bpermute_b32 v25, v14, v1
	s_waitcnt lgkmcnt(3)
	ds_bpermute_b32 v24, v14, v22
	s_waitcnt lgkmcnt(3)
	ds_bpermute_b32 v23, v14, v3
	v_cmp_le_u32_e32 vcc, v13, v20
	;; [unrolled: 30-line block ×3, first 2 shown]
	s_and_saveexec_b64 s[2:3], vcc
	s_cbranch_execz .LBB92_10
; %bb.9:                                ;   in Loop: Header=BB92_2 Depth=1
	s_waitcnt lgkmcnt(3)
	v_add_co_u32_e32 v21, vcc, v0, v26
	v_addc_co_u32_e32 v1, vcc, 0, v1, vcc
	v_addc_co_u32_e32 v2, vcc, 0, v2, vcc
	;; [unrolled: 1-line block ×3, first 2 shown]
	v_add_co_u32_e32 v0, vcc, 0, v21
	s_waitcnt lgkmcnt(2)
	v_addc_co_u32_e32 v1, vcc, v25, v1, vcc
	v_addc_co_u32_e32 v2, vcc, 0, v2, vcc
	;; [unrolled: 1-line block ×3, first 2 shown]
	s_waitcnt lgkmcnt(1)
	v_add_co_u32_e32 v22, vcc, v2, v24
	v_addc_co_u32_e32 v3, vcc, 0, v3, vcc
	v_add_co_u32_e32 v2, vcc, 0, v22
	s_waitcnt lgkmcnt(0)
	v_addc_co_u32_e32 v3, vcc, v3, v23, vcc
.LBB92_10:                              ;   in Loop: Header=BB92_2 Depth=1
	s_or_b64 exec, exec, s[2:3]
	s_waitcnt lgkmcnt(1)
	ds_bpermute_b32 v24, v18, v21
	s_waitcnt lgkmcnt(1)
	ds_bpermute_b32 v23, v18, v1
	ds_bpermute_b32 v22, v18, v22
	;; [unrolled: 1-line block ×3, first 2 shown]
	v_cmp_le_u32_e32 vcc, v17, v20
	s_and_saveexec_b64 s[2:3], vcc
	s_cbranch_execz .LBB92_1
; %bb.11:                               ;   in Loop: Header=BB92_2 Depth=1
	s_waitcnt lgkmcnt(3)
	v_add_co_u32_e32 v0, vcc, v0, v24
	v_addc_co_u32_e32 v1, vcc, 0, v1, vcc
	v_addc_co_u32_e32 v2, vcc, 0, v2, vcc
	;; [unrolled: 1-line block ×3, first 2 shown]
	v_add_co_u32_e32 v0, vcc, 0, v0
	s_waitcnt lgkmcnt(2)
	v_addc_co_u32_e32 v1, vcc, v1, v23, vcc
	v_addc_co_u32_e32 v2, vcc, 0, v2, vcc
	;; [unrolled: 1-line block ×3, first 2 shown]
	s_waitcnt lgkmcnt(1)
	v_add_co_u32_e32 v2, vcc, v2, v22
	v_addc_co_u32_e32 v3, vcc, 0, v3, vcc
	v_add_co_u32_e32 v2, vcc, 0, v2
	s_waitcnt lgkmcnt(0)
	v_addc_co_u32_e32 v3, vcc, v3, v21, vcc
	s_branch .LBB92_1
.LBB92_12:
	v_mov_b32_e32 v6, s1
	v_add_co_u32_e32 v4, vcc, s0, v4
	v_addc_co_u32_e32 v5, vcc, v6, v5, vcc
	global_store_dwordx4 v[4:5], v[0:3], off
	s_endpgm
	.section	.rodata,"a",@progbits
	.p2align	6, 0x0
	.amdhsa_kernel _Z28segmented_warp_reduce_kernelIohLj32ELj100EEvPKT_PT0_PS0_
		.amdhsa_group_segment_fixed_size 0
		.amdhsa_private_segment_fixed_size 0
		.amdhsa_kernarg_size 280
		.amdhsa_user_sgpr_count 6
		.amdhsa_user_sgpr_private_segment_buffer 1
		.amdhsa_user_sgpr_dispatch_ptr 0
		.amdhsa_user_sgpr_queue_ptr 0
		.amdhsa_user_sgpr_kernarg_segment_ptr 1
		.amdhsa_user_sgpr_dispatch_id 0
		.amdhsa_user_sgpr_flat_scratch_init 0
		.amdhsa_user_sgpr_kernarg_preload_length 0
		.amdhsa_user_sgpr_kernarg_preload_offset 0
		.amdhsa_user_sgpr_private_segment_size 0
		.amdhsa_uses_dynamic_stack 0
		.amdhsa_system_sgpr_private_segment_wavefront_offset 0
		.amdhsa_system_sgpr_workgroup_id_x 1
		.amdhsa_system_sgpr_workgroup_id_y 0
		.amdhsa_system_sgpr_workgroup_id_z 0
		.amdhsa_system_sgpr_workgroup_info 0
		.amdhsa_system_vgpr_workitem_id 0
		.amdhsa_next_free_vgpr 27
		.amdhsa_next_free_sgpr 12
		.amdhsa_accum_offset 28
		.amdhsa_reserve_vcc 1
		.amdhsa_reserve_flat_scratch 0
		.amdhsa_float_round_mode_32 0
		.amdhsa_float_round_mode_16_64 0
		.amdhsa_float_denorm_mode_32 3
		.amdhsa_float_denorm_mode_16_64 3
		.amdhsa_dx10_clamp 1
		.amdhsa_ieee_mode 1
		.amdhsa_fp16_overflow 0
		.amdhsa_tg_split 0
		.amdhsa_exception_fp_ieee_invalid_op 0
		.amdhsa_exception_fp_denorm_src 0
		.amdhsa_exception_fp_ieee_div_zero 0
		.amdhsa_exception_fp_ieee_overflow 0
		.amdhsa_exception_fp_ieee_underflow 0
		.amdhsa_exception_fp_ieee_inexact 0
		.amdhsa_exception_int_div_zero 0
	.end_amdhsa_kernel
	.section	.text._Z28segmented_warp_reduce_kernelIohLj32ELj100EEvPKT_PT0_PS0_,"axG",@progbits,_Z28segmented_warp_reduce_kernelIohLj32ELj100EEvPKT_PT0_PS0_,comdat
.Lfunc_end92:
	.size	_Z28segmented_warp_reduce_kernelIohLj32ELj100EEvPKT_PT0_PS0_, .Lfunc_end92-_Z28segmented_warp_reduce_kernelIohLj32ELj100EEvPKT_PT0_PS0_
                                        ; -- End function
	.section	.AMDGPU.csdata,"",@progbits
; Kernel info:
; codeLenInByte = 988
; NumSgprs: 16
; NumVgprs: 27
; NumAgprs: 0
; TotalNumVgprs: 27
; ScratchSize: 0
; MemoryBound: 0
; FloatMode: 240
; IeeeMode: 1
; LDSByteSize: 0 bytes/workgroup (compile time only)
; SGPRBlocks: 1
; VGPRBlocks: 3
; NumSGPRsForWavesPerEU: 16
; NumVGPRsForWavesPerEU: 27
; AccumOffset: 28
; Occupancy: 8
; WaveLimiterHint : 0
; COMPUTE_PGM_RSRC2:SCRATCH_EN: 0
; COMPUTE_PGM_RSRC2:USER_SGPR: 6
; COMPUTE_PGM_RSRC2:TRAP_HANDLER: 0
; COMPUTE_PGM_RSRC2:TGID_X_EN: 1
; COMPUTE_PGM_RSRC2:TGID_Y_EN: 0
; COMPUTE_PGM_RSRC2:TGID_Z_EN: 0
; COMPUTE_PGM_RSRC2:TIDIG_COMP_CNT: 0
; COMPUTE_PGM_RSRC3_GFX90A:ACCUM_OFFSET: 6
; COMPUTE_PGM_RSRC3_GFX90A:TG_SPLIT: 0
	.section	.text._Z28segmented_warp_reduce_kernelIohLj37ELj100EEvPKT_PT0_PS0_,"axG",@progbits,_Z28segmented_warp_reduce_kernelIohLj37ELj100EEvPKT_PT0_PS0_,comdat
	.protected	_Z28segmented_warp_reduce_kernelIohLj37ELj100EEvPKT_PT0_PS0_ ; -- Begin function _Z28segmented_warp_reduce_kernelIohLj37ELj100EEvPKT_PT0_PS0_
	.globl	_Z28segmented_warp_reduce_kernelIohLj37ELj100EEvPKT_PT0_PS0_
	.p2align	8
	.type	_Z28segmented_warp_reduce_kernelIohLj37ELj100EEvPKT_PT0_PS0_,@function
_Z28segmented_warp_reduce_kernelIohLj37ELj100EEvPKT_PT0_PS0_: ; @_Z28segmented_warp_reduce_kernelIohLj37ELj100EEvPKT_PT0_PS0_
; %bb.0:
	s_load_dword s2, s[4:5], 0x24
	s_load_dwordx4 s[8:11], s[4:5], 0x0
	s_load_dwordx2 s[0:1], s[4:5], 0x10
	v_mov_b32_e32 v1, 0
	v_mbcnt_lo_u32_b32 v6, -1, 0
	s_waitcnt lgkmcnt(0)
	s_and_b32 s2, s2, 0xffff
	s_mul_i32 s6, s6, s2
	v_add_u32_e32 v0, s6, v0
	v_lshlrev_b64 v[4:5], 4, v[0:1]
	v_mov_b32_e32 v1, s9
	global_load_ubyte v16, v0, s[10:11]
	v_add_co_u32_e32 v0, vcc, s8, v4
	v_addc_co_u32_e32 v1, vcc, v1, v5, vcc
	global_load_dwordx4 v[0:3], v[0:1], off
	v_mbcnt_hi_u32_b32 v8, -1, v6
	s_mov_b32 s2, 0x6eb3e46
	v_mul_hi_u32 v6, v8, s2
	v_mul_u32_u24_e32 v6, 37, v6
	v_sub_u32_e32 v7, v8, v6
	v_lshlrev_b64 v[8:9], v8, -1
	v_lshlrev_b32_e32 v10, 4, v7
	v_add_u32_e32 v11, 2, v7
	v_add_u32_e32 v12, 4, v7
	;; [unrolled: 1-line block ×5, first 2 shown]
	s_movk_i32 s4, 0x64
	s_waitcnt vmcnt(1)
	v_cmp_ne_u16_e32 vcc, 0, v16
	v_cndmask_b32_e64 v16, 0, 1, vcc
	s_branch .LBB93_2
.LBB93_1:                               ;   in Loop: Header=BB93_2 Depth=1
	s_or_b64 exec, exec, s[2:3]
	s_add_i32 s4, s4, -1
	s_cmp_eq_u32 s4, 0
	; wave barrier
	s_cbranch_scc1 .LBB93_14
.LBB93_2:                               ; =>This Inner Loop Header: Depth=1
	v_cmp_ne_u32_e32 vcc, 0, v16
	s_lshr_b64 s[2:3], vcc, 1
	v_and_b32_e32 v19, s3, v9
	v_and_b32_e32 v18, s2, v8
	v_lshrrev_b64 v[18:19], v6, v[18:19]
	v_or_b32_e32 v17, 16, v19
	v_ffbl_b32_e32 v17, v17
	v_add_u32_e32 v17, 32, v17
	v_ffbl_b32_e32 v18, v18
	v_min_u32_e32 v17, v18, v17
	v_cmp_lt_u32_e32 vcc, v7, v17
	s_waitcnt vmcnt(0)
	ds_write_b128 v10, v[0:3]
	; wave barrier
	s_and_saveexec_b64 s[2:3], vcc
	s_cbranch_execz .LBB93_4
; %bb.3:                                ;   in Loop: Header=BB93_2 Depth=1
	ds_read_b128 v[18:21], v10 offset:16
	s_waitcnt lgkmcnt(0)
	v_add_co_u32_e32 v0, vcc, v18, v0
	v_addc_co_u32_e32 v1, vcc, v19, v1, vcc
	v_addc_co_u32_e32 v2, vcc, v20, v2, vcc
	v_addc_co_u32_e32 v3, vcc, v21, v3, vcc
.LBB93_4:                               ;   in Loop: Header=BB93_2 Depth=1
	s_or_b64 exec, exec, s[2:3]
	v_cmp_le_u32_e32 vcc, v11, v17
	; wave barrier
	ds_write_b128 v10, v[0:3]
	; wave barrier
	s_and_saveexec_b64 s[2:3], vcc
	s_cbranch_execz .LBB93_6
; %bb.5:                                ;   in Loop: Header=BB93_2 Depth=1
	ds_read_b128 v[18:21], v10 offset:32
	s_waitcnt lgkmcnt(0)
	v_add_co_u32_e32 v0, vcc, v18, v0
	v_addc_co_u32_e32 v1, vcc, v19, v1, vcc
	v_addc_co_u32_e32 v2, vcc, v20, v2, vcc
	v_addc_co_u32_e32 v3, vcc, v21, v3, vcc
.LBB93_6:                               ;   in Loop: Header=BB93_2 Depth=1
	s_or_b64 exec, exec, s[2:3]
	v_cmp_le_u32_e32 vcc, v12, v17
	; wave barrier
	;; [unrolled: 15-line block ×3, first 2 shown]
	ds_write_b128 v10, v[0:3]
	; wave barrier
	s_and_saveexec_b64 s[2:3], vcc
	s_cbranch_execz .LBB93_10
; %bb.9:                                ;   in Loop: Header=BB93_2 Depth=1
	ds_read_b128 v[18:21], v10 offset:128
	s_waitcnt lgkmcnt(0)
	v_add_co_u32_e32 v0, vcc, v18, v0
	v_addc_co_u32_e32 v1, vcc, v19, v1, vcc
	v_addc_co_u32_e32 v2, vcc, v20, v2, vcc
	;; [unrolled: 1-line block ×3, first 2 shown]
.LBB93_10:                              ;   in Loop: Header=BB93_2 Depth=1
	s_or_b64 exec, exec, s[2:3]
	v_cmp_le_u32_e32 vcc, v14, v17
	; wave barrier
	ds_write_b128 v10, v[0:3]
	; wave barrier
	s_and_saveexec_b64 s[2:3], vcc
	s_cbranch_execz .LBB93_12
; %bb.11:                               ;   in Loop: Header=BB93_2 Depth=1
	ds_read_b128 v[18:21], v10 offset:256
	s_waitcnt lgkmcnt(0)
	v_add_co_u32_e32 v0, vcc, v18, v0
	v_addc_co_u32_e32 v1, vcc, v19, v1, vcc
	v_addc_co_u32_e32 v2, vcc, v20, v2, vcc
	;; [unrolled: 1-line block ×3, first 2 shown]
.LBB93_12:                              ;   in Loop: Header=BB93_2 Depth=1
	s_or_b64 exec, exec, s[2:3]
	v_cmp_le_u32_e32 vcc, v15, v17
	; wave barrier
	ds_write_b128 v10, v[0:3]
	; wave barrier
	s_and_saveexec_b64 s[2:3], vcc
	s_cbranch_execz .LBB93_1
; %bb.13:                               ;   in Loop: Header=BB93_2 Depth=1
	ds_read_b128 v[18:21], v10 offset:512
	s_waitcnt lgkmcnt(0)
	v_add_co_u32_e32 v0, vcc, v18, v0
	v_addc_co_u32_e32 v1, vcc, v19, v1, vcc
	v_addc_co_u32_e32 v2, vcc, v20, v2, vcc
	;; [unrolled: 1-line block ×3, first 2 shown]
	s_branch .LBB93_1
.LBB93_14:
	v_mov_b32_e32 v6, s1
	v_add_co_u32_e32 v4, vcc, s0, v4
	v_addc_co_u32_e32 v5, vcc, v6, v5, vcc
	global_store_dwordx4 v[4:5], v[0:3], off
	s_endpgm
	.section	.rodata,"a",@progbits
	.p2align	6, 0x0
	.amdhsa_kernel _Z28segmented_warp_reduce_kernelIohLj37ELj100EEvPKT_PT0_PS0_
		.amdhsa_group_segment_fixed_size 592
		.amdhsa_private_segment_fixed_size 0
		.amdhsa_kernarg_size 280
		.amdhsa_user_sgpr_count 6
		.amdhsa_user_sgpr_private_segment_buffer 1
		.amdhsa_user_sgpr_dispatch_ptr 0
		.amdhsa_user_sgpr_queue_ptr 0
		.amdhsa_user_sgpr_kernarg_segment_ptr 1
		.amdhsa_user_sgpr_dispatch_id 0
		.amdhsa_user_sgpr_flat_scratch_init 0
		.amdhsa_user_sgpr_kernarg_preload_length 0
		.amdhsa_user_sgpr_kernarg_preload_offset 0
		.amdhsa_user_sgpr_private_segment_size 0
		.amdhsa_uses_dynamic_stack 0
		.amdhsa_system_sgpr_private_segment_wavefront_offset 0
		.amdhsa_system_sgpr_workgroup_id_x 1
		.amdhsa_system_sgpr_workgroup_id_y 0
		.amdhsa_system_sgpr_workgroup_id_z 0
		.amdhsa_system_sgpr_workgroup_info 0
		.amdhsa_system_vgpr_workitem_id 0
		.amdhsa_next_free_vgpr 22
		.amdhsa_next_free_sgpr 12
		.amdhsa_accum_offset 24
		.amdhsa_reserve_vcc 1
		.amdhsa_reserve_flat_scratch 0
		.amdhsa_float_round_mode_32 0
		.amdhsa_float_round_mode_16_64 0
		.amdhsa_float_denorm_mode_32 3
		.amdhsa_float_denorm_mode_16_64 3
		.amdhsa_dx10_clamp 1
		.amdhsa_ieee_mode 1
		.amdhsa_fp16_overflow 0
		.amdhsa_tg_split 0
		.amdhsa_exception_fp_ieee_invalid_op 0
		.amdhsa_exception_fp_denorm_src 0
		.amdhsa_exception_fp_ieee_div_zero 0
		.amdhsa_exception_fp_ieee_overflow 0
		.amdhsa_exception_fp_ieee_underflow 0
		.amdhsa_exception_fp_ieee_inexact 0
		.amdhsa_exception_int_div_zero 0
	.end_amdhsa_kernel
	.section	.text._Z28segmented_warp_reduce_kernelIohLj37ELj100EEvPKT_PT0_PS0_,"axG",@progbits,_Z28segmented_warp_reduce_kernelIohLj37ELj100EEvPKT_PT0_PS0_,comdat
.Lfunc_end93:
	.size	_Z28segmented_warp_reduce_kernelIohLj37ELj100EEvPKT_PT0_PS0_, .Lfunc_end93-_Z28segmented_warp_reduce_kernelIohLj37ELj100EEvPKT_PT0_PS0_
                                        ; -- End function
	.section	.AMDGPU.csdata,"",@progbits
; Kernel info:
; codeLenInByte = 580
; NumSgprs: 16
; NumVgprs: 22
; NumAgprs: 0
; TotalNumVgprs: 22
; ScratchSize: 0
; MemoryBound: 0
; FloatMode: 240
; IeeeMode: 1
; LDSByteSize: 592 bytes/workgroup (compile time only)
; SGPRBlocks: 1
; VGPRBlocks: 2
; NumSGPRsForWavesPerEU: 16
; NumVGPRsForWavesPerEU: 22
; AccumOffset: 24
; Occupancy: 8
; WaveLimiterHint : 0
; COMPUTE_PGM_RSRC2:SCRATCH_EN: 0
; COMPUTE_PGM_RSRC2:USER_SGPR: 6
; COMPUTE_PGM_RSRC2:TRAP_HANDLER: 0
; COMPUTE_PGM_RSRC2:TGID_X_EN: 1
; COMPUTE_PGM_RSRC2:TGID_Y_EN: 0
; COMPUTE_PGM_RSRC2:TGID_Z_EN: 0
; COMPUTE_PGM_RSRC2:TIDIG_COMP_CNT: 0
; COMPUTE_PGM_RSRC3_GFX90A:ACCUM_OFFSET: 5
; COMPUTE_PGM_RSRC3_GFX90A:TG_SPLIT: 0
	.section	.text._Z28segmented_warp_reduce_kernelIohLj61ELj100EEvPKT_PT0_PS0_,"axG",@progbits,_Z28segmented_warp_reduce_kernelIohLj61ELj100EEvPKT_PT0_PS0_,comdat
	.protected	_Z28segmented_warp_reduce_kernelIohLj61ELj100EEvPKT_PT0_PS0_ ; -- Begin function _Z28segmented_warp_reduce_kernelIohLj61ELj100EEvPKT_PT0_PS0_
	.globl	_Z28segmented_warp_reduce_kernelIohLj61ELj100EEvPKT_PT0_PS0_
	.p2align	8
	.type	_Z28segmented_warp_reduce_kernelIohLj61ELj100EEvPKT_PT0_PS0_,@function
_Z28segmented_warp_reduce_kernelIohLj61ELj100EEvPKT_PT0_PS0_: ; @_Z28segmented_warp_reduce_kernelIohLj61ELj100EEvPKT_PT0_PS0_
; %bb.0:
	s_load_dword s2, s[4:5], 0x24
	s_load_dwordx4 s[8:11], s[4:5], 0x0
	s_load_dwordx2 s[0:1], s[4:5], 0x10
	v_mov_b32_e32 v1, 0
	v_mbcnt_lo_u32_b32 v6, -1, 0
	s_waitcnt lgkmcnt(0)
	s_and_b32 s2, s2, 0xffff
	s_mul_i32 s6, s6, s2
	v_add_u32_e32 v0, s6, v0
	v_lshlrev_b64 v[4:5], 4, v[0:1]
	v_mov_b32_e32 v1, s9
	global_load_ubyte v16, v0, s[10:11]
	v_add_co_u32_e32 v0, vcc, s8, v4
	v_addc_co_u32_e32 v1, vcc, v1, v5, vcc
	global_load_dwordx4 v[0:3], v[0:1], off
	v_mbcnt_hi_u32_b32 v8, -1, v6
	s_mov_b32 s2, 0x4325c54
	v_mul_hi_u32 v6, v8, s2
	v_mul_u32_u24_e32 v6, 61, v6
	v_sub_u32_e32 v7, v8, v6
	v_lshlrev_b64 v[8:9], v8, -1
	v_lshlrev_b32_e32 v10, 4, v7
	v_add_u32_e32 v11, 2, v7
	v_add_u32_e32 v12, 4, v7
	;; [unrolled: 1-line block ×5, first 2 shown]
	s_movk_i32 s4, 0x64
	s_waitcnt vmcnt(1)
	v_cmp_ne_u16_e32 vcc, 0, v16
	v_cndmask_b32_e64 v16, 0, 1, vcc
	s_branch .LBB94_2
.LBB94_1:                               ;   in Loop: Header=BB94_2 Depth=1
	s_or_b64 exec, exec, s[2:3]
	s_add_i32 s4, s4, -1
	s_cmp_eq_u32 s4, 0
	; wave barrier
	s_cbranch_scc1 .LBB94_14
.LBB94_2:                               ; =>This Inner Loop Header: Depth=1
	v_cmp_ne_u32_e32 vcc, 0, v16
	s_lshr_b64 s[2:3], vcc, 1
	v_and_b32_e32 v19, s3, v9
	v_and_b32_e32 v18, s2, v8
	v_lshrrev_b64 v[18:19], v6, v[18:19]
	v_or_b32_e32 v17, 0x10000000, v19
	v_ffbl_b32_e32 v17, v17
	v_add_u32_e32 v17, 32, v17
	v_ffbl_b32_e32 v18, v18
	v_min_u32_e32 v17, v18, v17
	v_cmp_lt_u32_e32 vcc, v7, v17
	s_waitcnt vmcnt(0)
	ds_write_b128 v10, v[0:3]
	; wave barrier
	s_and_saveexec_b64 s[2:3], vcc
	s_cbranch_execz .LBB94_4
; %bb.3:                                ;   in Loop: Header=BB94_2 Depth=1
	ds_read_b128 v[18:21], v10 offset:16
	s_waitcnt lgkmcnt(0)
	v_add_co_u32_e32 v0, vcc, v18, v0
	v_addc_co_u32_e32 v1, vcc, v19, v1, vcc
	v_addc_co_u32_e32 v2, vcc, v20, v2, vcc
	v_addc_co_u32_e32 v3, vcc, v21, v3, vcc
.LBB94_4:                               ;   in Loop: Header=BB94_2 Depth=1
	s_or_b64 exec, exec, s[2:3]
	v_cmp_le_u32_e32 vcc, v11, v17
	; wave barrier
	ds_write_b128 v10, v[0:3]
	; wave barrier
	s_and_saveexec_b64 s[2:3], vcc
	s_cbranch_execz .LBB94_6
; %bb.5:                                ;   in Loop: Header=BB94_2 Depth=1
	ds_read_b128 v[18:21], v10 offset:32
	s_waitcnt lgkmcnt(0)
	v_add_co_u32_e32 v0, vcc, v18, v0
	v_addc_co_u32_e32 v1, vcc, v19, v1, vcc
	v_addc_co_u32_e32 v2, vcc, v20, v2, vcc
	v_addc_co_u32_e32 v3, vcc, v21, v3, vcc
.LBB94_6:                               ;   in Loop: Header=BB94_2 Depth=1
	s_or_b64 exec, exec, s[2:3]
	v_cmp_le_u32_e32 vcc, v12, v17
	; wave barrier
	;; [unrolled: 15-line block ×3, first 2 shown]
	ds_write_b128 v10, v[0:3]
	; wave barrier
	s_and_saveexec_b64 s[2:3], vcc
	s_cbranch_execz .LBB94_10
; %bb.9:                                ;   in Loop: Header=BB94_2 Depth=1
	ds_read_b128 v[18:21], v10 offset:128
	s_waitcnt lgkmcnt(0)
	v_add_co_u32_e32 v0, vcc, v18, v0
	v_addc_co_u32_e32 v1, vcc, v19, v1, vcc
	v_addc_co_u32_e32 v2, vcc, v20, v2, vcc
	v_addc_co_u32_e32 v3, vcc, v21, v3, vcc
.LBB94_10:                              ;   in Loop: Header=BB94_2 Depth=1
	s_or_b64 exec, exec, s[2:3]
	v_cmp_le_u32_e32 vcc, v14, v17
	; wave barrier
	ds_write_b128 v10, v[0:3]
	; wave barrier
	s_and_saveexec_b64 s[2:3], vcc
	s_cbranch_execz .LBB94_12
; %bb.11:                               ;   in Loop: Header=BB94_2 Depth=1
	ds_read_b128 v[18:21], v10 offset:256
	s_waitcnt lgkmcnt(0)
	v_add_co_u32_e32 v0, vcc, v18, v0
	v_addc_co_u32_e32 v1, vcc, v19, v1, vcc
	v_addc_co_u32_e32 v2, vcc, v20, v2, vcc
	v_addc_co_u32_e32 v3, vcc, v21, v3, vcc
.LBB94_12:                              ;   in Loop: Header=BB94_2 Depth=1
	s_or_b64 exec, exec, s[2:3]
	v_cmp_le_u32_e32 vcc, v15, v17
	; wave barrier
	ds_write_b128 v10, v[0:3]
	; wave barrier
	s_and_saveexec_b64 s[2:3], vcc
	s_cbranch_execz .LBB94_1
; %bb.13:                               ;   in Loop: Header=BB94_2 Depth=1
	ds_read_b128 v[18:21], v10 offset:512
	s_waitcnt lgkmcnt(0)
	v_add_co_u32_e32 v0, vcc, v18, v0
	v_addc_co_u32_e32 v1, vcc, v19, v1, vcc
	v_addc_co_u32_e32 v2, vcc, v20, v2, vcc
	;; [unrolled: 1-line block ×3, first 2 shown]
	s_branch .LBB94_1
.LBB94_14:
	v_mov_b32_e32 v6, s1
	v_add_co_u32_e32 v4, vcc, s0, v4
	v_addc_co_u32_e32 v5, vcc, v6, v5, vcc
	global_store_dwordx4 v[4:5], v[0:3], off
	s_endpgm
	.section	.rodata,"a",@progbits
	.p2align	6, 0x0
	.amdhsa_kernel _Z28segmented_warp_reduce_kernelIohLj61ELj100EEvPKT_PT0_PS0_
		.amdhsa_group_segment_fixed_size 976
		.amdhsa_private_segment_fixed_size 0
		.amdhsa_kernarg_size 280
		.amdhsa_user_sgpr_count 6
		.amdhsa_user_sgpr_private_segment_buffer 1
		.amdhsa_user_sgpr_dispatch_ptr 0
		.amdhsa_user_sgpr_queue_ptr 0
		.amdhsa_user_sgpr_kernarg_segment_ptr 1
		.amdhsa_user_sgpr_dispatch_id 0
		.amdhsa_user_sgpr_flat_scratch_init 0
		.amdhsa_user_sgpr_kernarg_preload_length 0
		.amdhsa_user_sgpr_kernarg_preload_offset 0
		.amdhsa_user_sgpr_private_segment_size 0
		.amdhsa_uses_dynamic_stack 0
		.amdhsa_system_sgpr_private_segment_wavefront_offset 0
		.amdhsa_system_sgpr_workgroup_id_x 1
		.amdhsa_system_sgpr_workgroup_id_y 0
		.amdhsa_system_sgpr_workgroup_id_z 0
		.amdhsa_system_sgpr_workgroup_info 0
		.amdhsa_system_vgpr_workitem_id 0
		.amdhsa_next_free_vgpr 22
		.amdhsa_next_free_sgpr 12
		.amdhsa_accum_offset 24
		.amdhsa_reserve_vcc 1
		.amdhsa_reserve_flat_scratch 0
		.amdhsa_float_round_mode_32 0
		.amdhsa_float_round_mode_16_64 0
		.amdhsa_float_denorm_mode_32 3
		.amdhsa_float_denorm_mode_16_64 3
		.amdhsa_dx10_clamp 1
		.amdhsa_ieee_mode 1
		.amdhsa_fp16_overflow 0
		.amdhsa_tg_split 0
		.amdhsa_exception_fp_ieee_invalid_op 0
		.amdhsa_exception_fp_denorm_src 0
		.amdhsa_exception_fp_ieee_div_zero 0
		.amdhsa_exception_fp_ieee_overflow 0
		.amdhsa_exception_fp_ieee_underflow 0
		.amdhsa_exception_fp_ieee_inexact 0
		.amdhsa_exception_int_div_zero 0
	.end_amdhsa_kernel
	.section	.text._Z28segmented_warp_reduce_kernelIohLj61ELj100EEvPKT_PT0_PS0_,"axG",@progbits,_Z28segmented_warp_reduce_kernelIohLj61ELj100EEvPKT_PT0_PS0_,comdat
.Lfunc_end94:
	.size	_Z28segmented_warp_reduce_kernelIohLj61ELj100EEvPKT_PT0_PS0_, .Lfunc_end94-_Z28segmented_warp_reduce_kernelIohLj61ELj100EEvPKT_PT0_PS0_
                                        ; -- End function
	.section	.AMDGPU.csdata,"",@progbits
; Kernel info:
; codeLenInByte = 584
; NumSgprs: 16
; NumVgprs: 22
; NumAgprs: 0
; TotalNumVgprs: 22
; ScratchSize: 0
; MemoryBound: 0
; FloatMode: 240
; IeeeMode: 1
; LDSByteSize: 976 bytes/workgroup (compile time only)
; SGPRBlocks: 1
; VGPRBlocks: 2
; NumSGPRsForWavesPerEU: 16
; NumVGPRsForWavesPerEU: 22
; AccumOffset: 24
; Occupancy: 8
; WaveLimiterHint : 0
; COMPUTE_PGM_RSRC2:SCRATCH_EN: 0
; COMPUTE_PGM_RSRC2:USER_SGPR: 6
; COMPUTE_PGM_RSRC2:TRAP_HANDLER: 0
; COMPUTE_PGM_RSRC2:TGID_X_EN: 1
; COMPUTE_PGM_RSRC2:TGID_Y_EN: 0
; COMPUTE_PGM_RSRC2:TGID_Z_EN: 0
; COMPUTE_PGM_RSRC2:TIDIG_COMP_CNT: 0
; COMPUTE_PGM_RSRC3_GFX90A:ACCUM_OFFSET: 5
; COMPUTE_PGM_RSRC3_GFX90A:TG_SPLIT: 0
	.section	.text._Z28segmented_warp_reduce_kernelIohLj64ELj100EEvPKT_PT0_PS0_,"axG",@progbits,_Z28segmented_warp_reduce_kernelIohLj64ELj100EEvPKT_PT0_PS0_,comdat
	.protected	_Z28segmented_warp_reduce_kernelIohLj64ELj100EEvPKT_PT0_PS0_ ; -- Begin function _Z28segmented_warp_reduce_kernelIohLj64ELj100EEvPKT_PT0_PS0_
	.globl	_Z28segmented_warp_reduce_kernelIohLj64ELj100EEvPKT_PT0_PS0_
	.p2align	8
	.type	_Z28segmented_warp_reduce_kernelIohLj64ELj100EEvPKT_PT0_PS0_,@function
_Z28segmented_warp_reduce_kernelIohLj64ELj100EEvPKT_PT0_PS0_: ; @_Z28segmented_warp_reduce_kernelIohLj64ELj100EEvPKT_PT0_PS0_
; %bb.0:
	s_load_dword s2, s[4:5], 0x24
	s_load_dwordx4 s[8:11], s[4:5], 0x0
	s_load_dwordx2 s[0:1], s[4:5], 0x10
	v_mov_b32_e32 v1, 0
	v_mbcnt_lo_u32_b32 v6, -1, 0
	s_waitcnt lgkmcnt(0)
	s_and_b32 s2, s2, 0xffff
	s_mul_i32 s6, s6, s2
	v_add_u32_e32 v0, s6, v0
	v_lshlrev_b64 v[4:5], 4, v[0:1]
	v_mov_b32_e32 v1, s9
	global_load_ubyte v20, v0, s[10:11]
	v_add_co_u32_e32 v0, vcc, s8, v4
	v_addc_co_u32_e32 v1, vcc, v1, v5, vcc
	global_load_dwordx4 v[0:3], v[0:1], off
	v_mbcnt_hi_u32_b32 v19, -1, v6
	v_and_b32_e32 v18, 63, v19
	v_cmp_ne_u32_e32 vcc, 63, v18
	v_addc_co_u32_e32 v8, vcc, 0, v19, vcc
	v_cmp_gt_u32_e32 vcc, 62, v18
	v_cndmask_b32_e64 v10, 0, 1, vcc
	v_cmp_gt_u32_e32 vcc, 60, v18
	v_cndmask_b32_e64 v12, 0, 1, vcc
	;; [unrolled: 2-line block ×5, first 2 shown]
	v_lshlrev_b32_e32 v10, 1, v10
	v_lshlrev_b32_e32 v12, 2, v12
	;; [unrolled: 1-line block ×5, first 2 shown]
	v_lshlrev_b64 v[6:7], v19, -1
	v_lshlrev_b32_e32 v8, 2, v8
	v_add_u32_e32 v9, 1, v19
	v_add_lshl_u32 v10, v10, v19, 2
	v_add_u32_e32 v11, 2, v19
	v_add_lshl_u32 v12, v12, v19, 2
	;; [unrolled: 2-line block ×5, first 2 shown]
	v_add_u32_e32 v19, 32, v19
	s_movk_i32 s4, 0x64
	s_waitcnt vmcnt(1)
	v_cmp_ne_u16_e32 vcc, 0, v20
	v_cndmask_b32_e64 v20, 0, 1, vcc
	s_branch .LBB95_2
.LBB95_1:                               ;   in Loop: Header=BB95_2 Depth=1
	s_or_b64 exec, exec, s[2:3]
	s_add_i32 s4, s4, -1
	s_cmp_eq_u32 s4, 0
	s_cbranch_scc1 .LBB95_14
.LBB95_2:                               ; =>This Inner Loop Header: Depth=1
	v_cmp_ne_u32_e32 vcc, 0, v20
	s_lshr_b64 s[2:3], vcc, 1
	v_and_b32_e32 v21, s3, v7
	v_or_b32_e32 v21, 0x80000000, v21
	s_waitcnt vmcnt(0)
	ds_bpermute_b32 v27, v8, v0
	ds_bpermute_b32 v26, v8, v1
	s_waitcnt lgkmcnt(5)
	ds_bpermute_b32 v25, v8, v2
	s_waitcnt lgkmcnt(5)
	;; [unrolled: 2-line block ×3, first 2 shown]
	v_and_b32_e32 v22, s2, v6
	v_ffbl_b32_e32 v21, v21
	v_add_u32_e32 v21, 32, v21
	v_ffbl_b32_e32 v22, v22
	v_min_u32_e32 v21, v22, v21
	v_cmp_le_u32_e32 vcc, v9, v21
	v_mov_b32_e32 v23, v2
	v_mov_b32_e32 v22, v0
	s_and_saveexec_b64 s[2:3], vcc
	s_cbranch_execz .LBB95_4
; %bb.3:                                ;   in Loop: Header=BB95_2 Depth=1
	s_waitcnt lgkmcnt(3)
	v_add_co_u32_e32 v22, vcc, v0, v27
	v_addc_co_u32_e32 v1, vcc, 0, v1, vcc
	v_addc_co_u32_e32 v2, vcc, 0, v2, vcc
	v_addc_co_u32_e32 v3, vcc, 0, v3, vcc
	v_add_co_u32_e32 v0, vcc, 0, v22
	s_waitcnt lgkmcnt(2)
	v_addc_co_u32_e32 v1, vcc, v26, v1, vcc
	v_addc_co_u32_e32 v2, vcc, 0, v2, vcc
	v_addc_co_u32_e32 v3, vcc, 0, v3, vcc
	s_waitcnt lgkmcnt(1)
	v_add_co_u32_e32 v23, vcc, v2, v25
	v_addc_co_u32_e32 v3, vcc, 0, v3, vcc
	v_add_co_u32_e32 v2, vcc, 0, v23
	s_waitcnt lgkmcnt(0)
	v_addc_co_u32_e32 v3, vcc, v3, v24, vcc
.LBB95_4:                               ;   in Loop: Header=BB95_2 Depth=1
	s_or_b64 exec, exec, s[2:3]
	s_waitcnt lgkmcnt(3)
	ds_bpermute_b32 v27, v10, v22
	s_waitcnt lgkmcnt(3)
	ds_bpermute_b32 v26, v10, v1
	s_waitcnt lgkmcnt(3)
	ds_bpermute_b32 v25, v10, v23
	s_waitcnt lgkmcnt(3)
	ds_bpermute_b32 v24, v10, v3
	v_cmp_le_u32_e32 vcc, v11, v21
	s_and_saveexec_b64 s[2:3], vcc
	s_cbranch_execz .LBB95_6
; %bb.5:                                ;   in Loop: Header=BB95_2 Depth=1
	s_waitcnt lgkmcnt(3)
	v_add_co_u32_e32 v22, vcc, v0, v27
	v_addc_co_u32_e32 v1, vcc, 0, v1, vcc
	v_addc_co_u32_e32 v2, vcc, 0, v2, vcc
	v_addc_co_u32_e32 v3, vcc, 0, v3, vcc
	v_add_co_u32_e32 v0, vcc, 0, v22
	s_waitcnt lgkmcnt(2)
	v_addc_co_u32_e32 v1, vcc, v26, v1, vcc
	v_addc_co_u32_e32 v2, vcc, 0, v2, vcc
	v_addc_co_u32_e32 v3, vcc, 0, v3, vcc
	s_waitcnt lgkmcnt(1)
	v_add_co_u32_e32 v23, vcc, v2, v25
	v_addc_co_u32_e32 v3, vcc, 0, v3, vcc
	v_add_co_u32_e32 v2, vcc, 0, v23
	s_waitcnt lgkmcnt(0)
	v_addc_co_u32_e32 v3, vcc, v3, v24, vcc
.LBB95_6:                               ;   in Loop: Header=BB95_2 Depth=1
	s_or_b64 exec, exec, s[2:3]
	s_waitcnt lgkmcnt(3)
	ds_bpermute_b32 v27, v12, v22
	s_waitcnt lgkmcnt(3)
	ds_bpermute_b32 v26, v12, v1
	s_waitcnt lgkmcnt(3)
	ds_bpermute_b32 v25, v12, v23
	s_waitcnt lgkmcnt(3)
	ds_bpermute_b32 v24, v12, v3
	v_cmp_le_u32_e32 vcc, v13, v21
	;; [unrolled: 30-line block ×3, first 2 shown]
	s_and_saveexec_b64 s[2:3], vcc
	s_cbranch_execz .LBB95_10
; %bb.9:                                ;   in Loop: Header=BB95_2 Depth=1
	s_waitcnt lgkmcnt(3)
	v_add_co_u32_e32 v22, vcc, v0, v27
	v_addc_co_u32_e32 v1, vcc, 0, v1, vcc
	v_addc_co_u32_e32 v2, vcc, 0, v2, vcc
	;; [unrolled: 1-line block ×3, first 2 shown]
	v_add_co_u32_e32 v0, vcc, 0, v22
	s_waitcnt lgkmcnt(2)
	v_addc_co_u32_e32 v1, vcc, v26, v1, vcc
	v_addc_co_u32_e32 v2, vcc, 0, v2, vcc
	;; [unrolled: 1-line block ×3, first 2 shown]
	s_waitcnt lgkmcnt(1)
	v_add_co_u32_e32 v23, vcc, v2, v25
	v_addc_co_u32_e32 v3, vcc, 0, v3, vcc
	v_add_co_u32_e32 v2, vcc, 0, v23
	s_waitcnt lgkmcnt(0)
	v_addc_co_u32_e32 v3, vcc, v3, v24, vcc
.LBB95_10:                              ;   in Loop: Header=BB95_2 Depth=1
	s_or_b64 exec, exec, s[2:3]
	s_waitcnt lgkmcnt(3)
	ds_bpermute_b32 v27, v16, v22
	s_waitcnt lgkmcnt(3)
	ds_bpermute_b32 v26, v16, v1
	;; [unrolled: 2-line block ×4, first 2 shown]
	v_cmp_le_u32_e32 vcc, v17, v21
	s_and_saveexec_b64 s[2:3], vcc
	s_cbranch_execz .LBB95_12
; %bb.11:                               ;   in Loop: Header=BB95_2 Depth=1
	s_waitcnt lgkmcnt(3)
	v_add_co_u32_e32 v22, vcc, v0, v27
	v_addc_co_u32_e32 v1, vcc, 0, v1, vcc
	v_addc_co_u32_e32 v2, vcc, 0, v2, vcc
	;; [unrolled: 1-line block ×3, first 2 shown]
	v_add_co_u32_e32 v0, vcc, 0, v22
	s_waitcnt lgkmcnt(2)
	v_addc_co_u32_e32 v1, vcc, v26, v1, vcc
	v_addc_co_u32_e32 v2, vcc, 0, v2, vcc
	;; [unrolled: 1-line block ×3, first 2 shown]
	s_waitcnt lgkmcnt(1)
	v_add_co_u32_e32 v23, vcc, v2, v25
	v_addc_co_u32_e32 v3, vcc, 0, v3, vcc
	v_add_co_u32_e32 v2, vcc, 0, v23
	s_waitcnt lgkmcnt(0)
	v_addc_co_u32_e32 v3, vcc, v3, v24, vcc
.LBB95_12:                              ;   in Loop: Header=BB95_2 Depth=1
	s_or_b64 exec, exec, s[2:3]
	s_waitcnt lgkmcnt(1)
	ds_bpermute_b32 v25, v18, v22
	s_waitcnt lgkmcnt(1)
	ds_bpermute_b32 v24, v18, v1
	ds_bpermute_b32 v23, v18, v23
	ds_bpermute_b32 v22, v18, v3
	v_cmp_le_u32_e32 vcc, v19, v21
	s_and_saveexec_b64 s[2:3], vcc
	s_cbranch_execz .LBB95_1
; %bb.13:                               ;   in Loop: Header=BB95_2 Depth=1
	s_waitcnt lgkmcnt(3)
	v_add_co_u32_e32 v0, vcc, v0, v25
	v_addc_co_u32_e32 v1, vcc, 0, v1, vcc
	v_addc_co_u32_e32 v2, vcc, 0, v2, vcc
	;; [unrolled: 1-line block ×3, first 2 shown]
	v_add_co_u32_e32 v0, vcc, 0, v0
	s_waitcnt lgkmcnt(2)
	v_addc_co_u32_e32 v1, vcc, v1, v24, vcc
	v_addc_co_u32_e32 v2, vcc, 0, v2, vcc
	;; [unrolled: 1-line block ×3, first 2 shown]
	s_waitcnt lgkmcnt(1)
	v_add_co_u32_e32 v2, vcc, v2, v23
	v_addc_co_u32_e32 v3, vcc, 0, v3, vcc
	v_add_co_u32_e32 v2, vcc, 0, v2
	s_waitcnt lgkmcnt(0)
	v_addc_co_u32_e32 v3, vcc, v3, v22, vcc
	s_branch .LBB95_1
.LBB95_14:
	v_mov_b32_e32 v6, s1
	v_add_co_u32_e32 v4, vcc, s0, v4
	v_addc_co_u32_e32 v5, vcc, v6, v5, vcc
	global_store_dwordx4 v[4:5], v[0:3], off
	s_endpgm
	.section	.rodata,"a",@progbits
	.p2align	6, 0x0
	.amdhsa_kernel _Z28segmented_warp_reduce_kernelIohLj64ELj100EEvPKT_PT0_PS0_
		.amdhsa_group_segment_fixed_size 0
		.amdhsa_private_segment_fixed_size 0
		.amdhsa_kernarg_size 280
		.amdhsa_user_sgpr_count 6
		.amdhsa_user_sgpr_private_segment_buffer 1
		.amdhsa_user_sgpr_dispatch_ptr 0
		.amdhsa_user_sgpr_queue_ptr 0
		.amdhsa_user_sgpr_kernarg_segment_ptr 1
		.amdhsa_user_sgpr_dispatch_id 0
		.amdhsa_user_sgpr_flat_scratch_init 0
		.amdhsa_user_sgpr_kernarg_preload_length 0
		.amdhsa_user_sgpr_kernarg_preload_offset 0
		.amdhsa_user_sgpr_private_segment_size 0
		.amdhsa_uses_dynamic_stack 0
		.amdhsa_system_sgpr_private_segment_wavefront_offset 0
		.amdhsa_system_sgpr_workgroup_id_x 1
		.amdhsa_system_sgpr_workgroup_id_y 0
		.amdhsa_system_sgpr_workgroup_id_z 0
		.amdhsa_system_sgpr_workgroup_info 0
		.amdhsa_system_vgpr_workitem_id 0
		.amdhsa_next_free_vgpr 28
		.amdhsa_next_free_sgpr 12
		.amdhsa_accum_offset 28
		.amdhsa_reserve_vcc 1
		.amdhsa_reserve_flat_scratch 0
		.amdhsa_float_round_mode_32 0
		.amdhsa_float_round_mode_16_64 0
		.amdhsa_float_denorm_mode_32 3
		.amdhsa_float_denorm_mode_16_64 3
		.amdhsa_dx10_clamp 1
		.amdhsa_ieee_mode 1
		.amdhsa_fp16_overflow 0
		.amdhsa_tg_split 0
		.amdhsa_exception_fp_ieee_invalid_op 0
		.amdhsa_exception_fp_denorm_src 0
		.amdhsa_exception_fp_ieee_div_zero 0
		.amdhsa_exception_fp_ieee_overflow 0
		.amdhsa_exception_fp_ieee_underflow 0
		.amdhsa_exception_fp_ieee_inexact 0
		.amdhsa_exception_int_div_zero 0
	.end_amdhsa_kernel
	.section	.text._Z28segmented_warp_reduce_kernelIohLj64ELj100EEvPKT_PT0_PS0_,"axG",@progbits,_Z28segmented_warp_reduce_kernelIohLj64ELj100EEvPKT_PT0_PS0_,comdat
.Lfunc_end95:
	.size	_Z28segmented_warp_reduce_kernelIohLj64ELj100EEvPKT_PT0_PS0_, .Lfunc_end95-_Z28segmented_warp_reduce_kernelIohLj64ELj100EEvPKT_PT0_PS0_
                                        ; -- End function
	.section	.AMDGPU.csdata,"",@progbits
; Kernel info:
; codeLenInByte = 1140
; NumSgprs: 16
; NumVgprs: 28
; NumAgprs: 0
; TotalNumVgprs: 28
; ScratchSize: 0
; MemoryBound: 0
; FloatMode: 240
; IeeeMode: 1
; LDSByteSize: 0 bytes/workgroup (compile time only)
; SGPRBlocks: 1
; VGPRBlocks: 3
; NumSGPRsForWavesPerEU: 16
; NumVGPRsForWavesPerEU: 28
; AccumOffset: 28
; Occupancy: 8
; WaveLimiterHint : 0
; COMPUTE_PGM_RSRC2:SCRATCH_EN: 0
; COMPUTE_PGM_RSRC2:USER_SGPR: 6
; COMPUTE_PGM_RSRC2:TRAP_HANDLER: 0
; COMPUTE_PGM_RSRC2:TGID_X_EN: 1
; COMPUTE_PGM_RSRC2:TGID_Y_EN: 0
; COMPUTE_PGM_RSRC2:TGID_Z_EN: 0
; COMPUTE_PGM_RSRC2:TIDIG_COMP_CNT: 0
; COMPUTE_PGM_RSRC3_GFX90A:ACCUM_OFFSET: 6
; COMPUTE_PGM_RSRC3_GFX90A:TG_SPLIT: 0
	.text
	.p2alignl 6, 3212836864
	.fill 256, 4, 3212836864
	.type	__hip_cuid_df846749733208eb,@object ; @__hip_cuid_df846749733208eb
	.section	.bss,"aw",@nobits
	.globl	__hip_cuid_df846749733208eb
__hip_cuid_df846749733208eb:
	.byte	0                               ; 0x0
	.size	__hip_cuid_df846749733208eb, 1

	.ident	"AMD clang version 19.0.0git (https://github.com/RadeonOpenCompute/llvm-project roc-6.4.0 25133 c7fe45cf4b819c5991fe208aaa96edf142730f1d)"
	.section	".note.GNU-stack","",@progbits
	.addrsig
	.addrsig_sym __hip_cuid_df846749733208eb
	.amdgpu_metadata
---
amdhsa.kernels:
  - .agpr_count:     0
    .args:
      - .address_space:  global
        .offset:         0
        .size:           8
        .value_kind:     global_buffer
      - .address_space:  global
        .offset:         8
        .size:           8
        .value_kind:     global_buffer
      - .offset:         16
        .size:           4
        .value_kind:     hidden_block_count_x
      - .offset:         20
        .size:           4
        .value_kind:     hidden_block_count_y
      - .offset:         24
        .size:           4
        .value_kind:     hidden_block_count_z
      - .offset:         28
        .size:           2
        .value_kind:     hidden_group_size_x
      - .offset:         30
        .size:           2
        .value_kind:     hidden_group_size_y
      - .offset:         32
        .size:           2
        .value_kind:     hidden_group_size_z
      - .offset:         34
        .size:           2
        .value_kind:     hidden_remainder_x
      - .offset:         36
        .size:           2
        .value_kind:     hidden_remainder_y
      - .offset:         38
        .size:           2
        .value_kind:     hidden_remainder_z
      - .offset:         56
        .size:           8
        .value_kind:     hidden_global_offset_x
      - .offset:         64
        .size:           8
        .value_kind:     hidden_global_offset_y
      - .offset:         72
        .size:           8
        .value_kind:     hidden_global_offset_z
      - .offset:         80
        .size:           2
        .value_kind:     hidden_grid_dims
    .group_segment_fixed_size: 0
    .kernarg_segment_align: 8
    .kernarg_segment_size: 272
    .language:       OpenCL C
    .language_version:
      - 2
      - 0
    .max_flat_workgroup_size: 256
    .name:           _Z18warp_reduce_kernelILb0EiLj32ELj100EEvPKT0_PS0_
    .private_segment_fixed_size: 0
    .sgpr_count:     12
    .sgpr_spill_count: 0
    .symbol:         _Z18warp_reduce_kernelILb0EiLj32ELj100EEvPKT0_PS0_.kd
    .uniform_work_group_size: 1
    .uses_dynamic_stack: false
    .vgpr_count:     9
    .vgpr_spill_count: 0
    .wavefront_size: 64
  - .agpr_count:     0
    .args:
      - .address_space:  global
        .offset:         0
        .size:           8
        .value_kind:     global_buffer
      - .address_space:  global
        .offset:         8
        .size:           8
        .value_kind:     global_buffer
      - .offset:         16
        .size:           4
        .value_kind:     hidden_block_count_x
      - .offset:         20
        .size:           4
        .value_kind:     hidden_block_count_y
      - .offset:         24
        .size:           4
        .value_kind:     hidden_block_count_z
      - .offset:         28
        .size:           2
        .value_kind:     hidden_group_size_x
      - .offset:         30
        .size:           2
        .value_kind:     hidden_group_size_y
      - .offset:         32
        .size:           2
        .value_kind:     hidden_group_size_z
      - .offset:         34
        .size:           2
        .value_kind:     hidden_remainder_x
      - .offset:         36
        .size:           2
        .value_kind:     hidden_remainder_y
      - .offset:         38
        .size:           2
        .value_kind:     hidden_remainder_z
      - .offset:         56
        .size:           8
        .value_kind:     hidden_global_offset_x
      - .offset:         64
        .size:           8
        .value_kind:     hidden_global_offset_y
      - .offset:         72
        .size:           8
        .value_kind:     hidden_global_offset_z
      - .offset:         80
        .size:           2
        .value_kind:     hidden_grid_dims
    .group_segment_fixed_size: 148
    .kernarg_segment_align: 8
    .kernarg_segment_size: 272
    .language:       OpenCL C
    .language_version:
      - 2
      - 0
    .max_flat_workgroup_size: 256
    .name:           _Z18warp_reduce_kernelILb0EiLj37ELj100EEvPKT0_PS0_
    .private_segment_fixed_size: 0
    .sgpr_count:     19
    .sgpr_spill_count: 0
    .symbol:         _Z18warp_reduce_kernelILb0EiLj37ELj100EEvPKT0_PS0_.kd
    .uniform_work_group_size: 1
    .uses_dynamic_stack: false
    .vgpr_count:     8
    .vgpr_spill_count: 0
    .wavefront_size: 64
  - .agpr_count:     0
    .args:
      - .address_space:  global
        .offset:         0
        .size:           8
        .value_kind:     global_buffer
      - .address_space:  global
        .offset:         8
        .size:           8
        .value_kind:     global_buffer
      - .offset:         16
        .size:           4
        .value_kind:     hidden_block_count_x
      - .offset:         20
        .size:           4
        .value_kind:     hidden_block_count_y
      - .offset:         24
        .size:           4
        .value_kind:     hidden_block_count_z
      - .offset:         28
        .size:           2
        .value_kind:     hidden_group_size_x
      - .offset:         30
        .size:           2
        .value_kind:     hidden_group_size_y
      - .offset:         32
        .size:           2
        .value_kind:     hidden_group_size_z
      - .offset:         34
        .size:           2
        .value_kind:     hidden_remainder_x
      - .offset:         36
        .size:           2
        .value_kind:     hidden_remainder_y
      - .offset:         38
        .size:           2
        .value_kind:     hidden_remainder_z
      - .offset:         56
        .size:           8
        .value_kind:     hidden_global_offset_x
      - .offset:         64
        .size:           8
        .value_kind:     hidden_global_offset_y
      - .offset:         72
        .size:           8
        .value_kind:     hidden_global_offset_z
      - .offset:         80
        .size:           2
        .value_kind:     hidden_grid_dims
    .group_segment_fixed_size: 244
    .kernarg_segment_align: 8
    .kernarg_segment_size: 272
    .language:       OpenCL C
    .language_version:
      - 2
      - 0
    .max_flat_workgroup_size: 256
    .name:           _Z18warp_reduce_kernelILb0EiLj61ELj100EEvPKT0_PS0_
    .private_segment_fixed_size: 0
    .sgpr_count:     19
    .sgpr_spill_count: 0
    .symbol:         _Z18warp_reduce_kernelILb0EiLj61ELj100EEvPKT0_PS0_.kd
    .uniform_work_group_size: 1
    .uses_dynamic_stack: false
    .vgpr_count:     8
    .vgpr_spill_count: 0
    .wavefront_size: 64
  - .agpr_count:     0
    .args:
      - .address_space:  global
        .offset:         0
        .size:           8
        .value_kind:     global_buffer
      - .address_space:  global
        .offset:         8
        .size:           8
        .value_kind:     global_buffer
      - .offset:         16
        .size:           4
        .value_kind:     hidden_block_count_x
      - .offset:         20
        .size:           4
        .value_kind:     hidden_block_count_y
      - .offset:         24
        .size:           4
        .value_kind:     hidden_block_count_z
      - .offset:         28
        .size:           2
        .value_kind:     hidden_group_size_x
      - .offset:         30
        .size:           2
        .value_kind:     hidden_group_size_y
      - .offset:         32
        .size:           2
        .value_kind:     hidden_group_size_z
      - .offset:         34
        .size:           2
        .value_kind:     hidden_remainder_x
      - .offset:         36
        .size:           2
        .value_kind:     hidden_remainder_y
      - .offset:         38
        .size:           2
        .value_kind:     hidden_remainder_z
      - .offset:         56
        .size:           8
        .value_kind:     hidden_global_offset_x
      - .offset:         64
        .size:           8
        .value_kind:     hidden_global_offset_y
      - .offset:         72
        .size:           8
        .value_kind:     hidden_global_offset_z
      - .offset:         80
        .size:           2
        .value_kind:     hidden_grid_dims
    .group_segment_fixed_size: 0
    .kernarg_segment_align: 8
    .kernarg_segment_size: 272
    .language:       OpenCL C
    .language_version:
      - 2
      - 0
    .max_flat_workgroup_size: 256
    .name:           _Z18warp_reduce_kernelILb0EiLj64ELj100EEvPKT0_PS0_
    .private_segment_fixed_size: 0
    .sgpr_count:     12
    .sgpr_spill_count: 0
    .symbol:         _Z18warp_reduce_kernelILb0EiLj64ELj100EEvPKT0_PS0_.kd
    .uniform_work_group_size: 1
    .uses_dynamic_stack: false
    .vgpr_count:     5
    .vgpr_spill_count: 0
    .wavefront_size: 64
  - .agpr_count:     0
    .args:
      - .address_space:  global
        .offset:         0
        .size:           8
        .value_kind:     global_buffer
      - .address_space:  global
        .offset:         8
        .size:           8
        .value_kind:     global_buffer
      - .offset:         16
        .size:           4
        .value_kind:     hidden_block_count_x
      - .offset:         20
        .size:           4
        .value_kind:     hidden_block_count_y
      - .offset:         24
        .size:           4
        .value_kind:     hidden_block_count_z
      - .offset:         28
        .size:           2
        .value_kind:     hidden_group_size_x
      - .offset:         30
        .size:           2
        .value_kind:     hidden_group_size_y
      - .offset:         32
        .size:           2
        .value_kind:     hidden_group_size_z
      - .offset:         34
        .size:           2
        .value_kind:     hidden_remainder_x
      - .offset:         36
        .size:           2
        .value_kind:     hidden_remainder_y
      - .offset:         38
        .size:           2
        .value_kind:     hidden_remainder_z
      - .offset:         56
        .size:           8
        .value_kind:     hidden_global_offset_x
      - .offset:         64
        .size:           8
        .value_kind:     hidden_global_offset_y
      - .offset:         72
        .size:           8
        .value_kind:     hidden_global_offset_z
      - .offset:         80
        .size:           2
        .value_kind:     hidden_grid_dims
    .group_segment_fixed_size: 0
    .kernarg_segment_align: 8
    .kernarg_segment_size: 272
    .language:       OpenCL C
    .language_version:
      - 2
      - 0
    .max_flat_workgroup_size: 256
    .name:           _Z18warp_reduce_kernelILb0EfLj32ELj100EEvPKT0_PS0_
    .private_segment_fixed_size: 0
    .sgpr_count:     12
    .sgpr_spill_count: 0
    .symbol:         _Z18warp_reduce_kernelILb0EfLj32ELj100EEvPKT0_PS0_.kd
    .uniform_work_group_size: 1
    .uses_dynamic_stack: false
    .vgpr_count:     9
    .vgpr_spill_count: 0
    .wavefront_size: 64
  - .agpr_count:     0
    .args:
      - .address_space:  global
        .offset:         0
        .size:           8
        .value_kind:     global_buffer
      - .address_space:  global
        .offset:         8
        .size:           8
        .value_kind:     global_buffer
      - .offset:         16
        .size:           4
        .value_kind:     hidden_block_count_x
      - .offset:         20
        .size:           4
        .value_kind:     hidden_block_count_y
      - .offset:         24
        .size:           4
        .value_kind:     hidden_block_count_z
      - .offset:         28
        .size:           2
        .value_kind:     hidden_group_size_x
      - .offset:         30
        .size:           2
        .value_kind:     hidden_group_size_y
      - .offset:         32
        .size:           2
        .value_kind:     hidden_group_size_z
      - .offset:         34
        .size:           2
        .value_kind:     hidden_remainder_x
      - .offset:         36
        .size:           2
        .value_kind:     hidden_remainder_y
      - .offset:         38
        .size:           2
        .value_kind:     hidden_remainder_z
      - .offset:         56
        .size:           8
        .value_kind:     hidden_global_offset_x
      - .offset:         64
        .size:           8
        .value_kind:     hidden_global_offset_y
      - .offset:         72
        .size:           8
        .value_kind:     hidden_global_offset_z
      - .offset:         80
        .size:           2
        .value_kind:     hidden_grid_dims
    .group_segment_fixed_size: 148
    .kernarg_segment_align: 8
    .kernarg_segment_size: 272
    .language:       OpenCL C
    .language_version:
      - 2
      - 0
    .max_flat_workgroup_size: 256
    .name:           _Z18warp_reduce_kernelILb0EfLj37ELj100EEvPKT0_PS0_
    .private_segment_fixed_size: 0
    .sgpr_count:     19
    .sgpr_spill_count: 0
    .symbol:         _Z18warp_reduce_kernelILb0EfLj37ELj100EEvPKT0_PS0_.kd
    .uniform_work_group_size: 1
    .uses_dynamic_stack: false
    .vgpr_count:     8
    .vgpr_spill_count: 0
    .wavefront_size: 64
  - .agpr_count:     0
    .args:
      - .address_space:  global
        .offset:         0
        .size:           8
        .value_kind:     global_buffer
      - .address_space:  global
        .offset:         8
        .size:           8
        .value_kind:     global_buffer
      - .offset:         16
        .size:           4
        .value_kind:     hidden_block_count_x
      - .offset:         20
        .size:           4
        .value_kind:     hidden_block_count_y
      - .offset:         24
        .size:           4
        .value_kind:     hidden_block_count_z
      - .offset:         28
        .size:           2
        .value_kind:     hidden_group_size_x
      - .offset:         30
        .size:           2
        .value_kind:     hidden_group_size_y
      - .offset:         32
        .size:           2
        .value_kind:     hidden_group_size_z
      - .offset:         34
        .size:           2
        .value_kind:     hidden_remainder_x
      - .offset:         36
        .size:           2
        .value_kind:     hidden_remainder_y
      - .offset:         38
        .size:           2
        .value_kind:     hidden_remainder_z
      - .offset:         56
        .size:           8
        .value_kind:     hidden_global_offset_x
      - .offset:         64
        .size:           8
        .value_kind:     hidden_global_offset_y
      - .offset:         72
        .size:           8
        .value_kind:     hidden_global_offset_z
      - .offset:         80
        .size:           2
        .value_kind:     hidden_grid_dims
    .group_segment_fixed_size: 244
    .kernarg_segment_align: 8
    .kernarg_segment_size: 272
    .language:       OpenCL C
    .language_version:
      - 2
      - 0
    .max_flat_workgroup_size: 256
    .name:           _Z18warp_reduce_kernelILb0EfLj61ELj100EEvPKT0_PS0_
    .private_segment_fixed_size: 0
    .sgpr_count:     19
    .sgpr_spill_count: 0
    .symbol:         _Z18warp_reduce_kernelILb0EfLj61ELj100EEvPKT0_PS0_.kd
    .uniform_work_group_size: 1
    .uses_dynamic_stack: false
    .vgpr_count:     8
    .vgpr_spill_count: 0
    .wavefront_size: 64
  - .agpr_count:     0
    .args:
      - .address_space:  global
        .offset:         0
        .size:           8
        .value_kind:     global_buffer
      - .address_space:  global
        .offset:         8
        .size:           8
        .value_kind:     global_buffer
      - .offset:         16
        .size:           4
        .value_kind:     hidden_block_count_x
      - .offset:         20
        .size:           4
        .value_kind:     hidden_block_count_y
      - .offset:         24
        .size:           4
        .value_kind:     hidden_block_count_z
      - .offset:         28
        .size:           2
        .value_kind:     hidden_group_size_x
      - .offset:         30
        .size:           2
        .value_kind:     hidden_group_size_y
      - .offset:         32
        .size:           2
        .value_kind:     hidden_group_size_z
      - .offset:         34
        .size:           2
        .value_kind:     hidden_remainder_x
      - .offset:         36
        .size:           2
        .value_kind:     hidden_remainder_y
      - .offset:         38
        .size:           2
        .value_kind:     hidden_remainder_z
      - .offset:         56
        .size:           8
        .value_kind:     hidden_global_offset_x
      - .offset:         64
        .size:           8
        .value_kind:     hidden_global_offset_y
      - .offset:         72
        .size:           8
        .value_kind:     hidden_global_offset_z
      - .offset:         80
        .size:           2
        .value_kind:     hidden_grid_dims
    .group_segment_fixed_size: 0
    .kernarg_segment_align: 8
    .kernarg_segment_size: 272
    .language:       OpenCL C
    .language_version:
      - 2
      - 0
    .max_flat_workgroup_size: 256
    .name:           _Z18warp_reduce_kernelILb0EfLj64ELj100EEvPKT0_PS0_
    .private_segment_fixed_size: 0
    .sgpr_count:     12
    .sgpr_spill_count: 0
    .symbol:         _Z18warp_reduce_kernelILb0EfLj64ELj100EEvPKT0_PS0_.kd
    .uniform_work_group_size: 1
    .uses_dynamic_stack: false
    .vgpr_count:     5
    .vgpr_spill_count: 0
    .wavefront_size: 64
  - .agpr_count:     0
    .args:
      - .address_space:  global
        .offset:         0
        .size:           8
        .value_kind:     global_buffer
      - .address_space:  global
        .offset:         8
        .size:           8
        .value_kind:     global_buffer
      - .offset:         16
        .size:           4
        .value_kind:     hidden_block_count_x
      - .offset:         20
        .size:           4
        .value_kind:     hidden_block_count_y
      - .offset:         24
        .size:           4
        .value_kind:     hidden_block_count_z
      - .offset:         28
        .size:           2
        .value_kind:     hidden_group_size_x
      - .offset:         30
        .size:           2
        .value_kind:     hidden_group_size_y
      - .offset:         32
        .size:           2
        .value_kind:     hidden_group_size_z
      - .offset:         34
        .size:           2
        .value_kind:     hidden_remainder_x
      - .offset:         36
        .size:           2
        .value_kind:     hidden_remainder_y
      - .offset:         38
        .size:           2
        .value_kind:     hidden_remainder_z
      - .offset:         56
        .size:           8
        .value_kind:     hidden_global_offset_x
      - .offset:         64
        .size:           8
        .value_kind:     hidden_global_offset_y
      - .offset:         72
        .size:           8
        .value_kind:     hidden_global_offset_z
      - .offset:         80
        .size:           2
        .value_kind:     hidden_grid_dims
    .group_segment_fixed_size: 0
    .kernarg_segment_align: 8
    .kernarg_segment_size: 272
    .language:       OpenCL C
    .language_version:
      - 2
      - 0
    .max_flat_workgroup_size: 256
    .name:           _Z18warp_reduce_kernelILb0EdLj32ELj100EEvPKT0_PS0_
    .private_segment_fixed_size: 0
    .sgpr_count:     12
    .sgpr_spill_count: 0
    .symbol:         _Z18warp_reduce_kernelILb0EdLj32ELj100EEvPKT0_PS0_.kd
    .uniform_work_group_size: 1
    .uses_dynamic_stack: false
    .vgpr_count:     12
    .vgpr_spill_count: 0
    .wavefront_size: 64
  - .agpr_count:     0
    .args:
      - .address_space:  global
        .offset:         0
        .size:           8
        .value_kind:     global_buffer
      - .address_space:  global
        .offset:         8
        .size:           8
        .value_kind:     global_buffer
      - .offset:         16
        .size:           4
        .value_kind:     hidden_block_count_x
      - .offset:         20
        .size:           4
        .value_kind:     hidden_block_count_y
      - .offset:         24
        .size:           4
        .value_kind:     hidden_block_count_z
      - .offset:         28
        .size:           2
        .value_kind:     hidden_group_size_x
      - .offset:         30
        .size:           2
        .value_kind:     hidden_group_size_y
      - .offset:         32
        .size:           2
        .value_kind:     hidden_group_size_z
      - .offset:         34
        .size:           2
        .value_kind:     hidden_remainder_x
      - .offset:         36
        .size:           2
        .value_kind:     hidden_remainder_y
      - .offset:         38
        .size:           2
        .value_kind:     hidden_remainder_z
      - .offset:         56
        .size:           8
        .value_kind:     hidden_global_offset_x
      - .offset:         64
        .size:           8
        .value_kind:     hidden_global_offset_y
      - .offset:         72
        .size:           8
        .value_kind:     hidden_global_offset_z
      - .offset:         80
        .size:           2
        .value_kind:     hidden_grid_dims
    .group_segment_fixed_size: 296
    .kernarg_segment_align: 8
    .kernarg_segment_size: 272
    .language:       OpenCL C
    .language_version:
      - 2
      - 0
    .max_flat_workgroup_size: 256
    .name:           _Z18warp_reduce_kernelILb0EdLj37ELj100EEvPKT0_PS0_
    .private_segment_fixed_size: 0
    .sgpr_count:     19
    .sgpr_spill_count: 0
    .symbol:         _Z18warp_reduce_kernelILb0EdLj37ELj100EEvPKT0_PS0_.kd
    .uniform_work_group_size: 1
    .uses_dynamic_stack: false
    .vgpr_count:     8
    .vgpr_spill_count: 0
    .wavefront_size: 64
  - .agpr_count:     0
    .args:
      - .address_space:  global
        .offset:         0
        .size:           8
        .value_kind:     global_buffer
      - .address_space:  global
        .offset:         8
        .size:           8
        .value_kind:     global_buffer
      - .offset:         16
        .size:           4
        .value_kind:     hidden_block_count_x
      - .offset:         20
        .size:           4
        .value_kind:     hidden_block_count_y
      - .offset:         24
        .size:           4
        .value_kind:     hidden_block_count_z
      - .offset:         28
        .size:           2
        .value_kind:     hidden_group_size_x
      - .offset:         30
        .size:           2
        .value_kind:     hidden_group_size_y
      - .offset:         32
        .size:           2
        .value_kind:     hidden_group_size_z
      - .offset:         34
        .size:           2
        .value_kind:     hidden_remainder_x
      - .offset:         36
        .size:           2
        .value_kind:     hidden_remainder_y
      - .offset:         38
        .size:           2
        .value_kind:     hidden_remainder_z
      - .offset:         56
        .size:           8
        .value_kind:     hidden_global_offset_x
      - .offset:         64
        .size:           8
        .value_kind:     hidden_global_offset_y
      - .offset:         72
        .size:           8
        .value_kind:     hidden_global_offset_z
      - .offset:         80
        .size:           2
        .value_kind:     hidden_grid_dims
    .group_segment_fixed_size: 488
    .kernarg_segment_align: 8
    .kernarg_segment_size: 272
    .language:       OpenCL C
    .language_version:
      - 2
      - 0
    .max_flat_workgroup_size: 256
    .name:           _Z18warp_reduce_kernelILb0EdLj61ELj100EEvPKT0_PS0_
    .private_segment_fixed_size: 0
    .sgpr_count:     19
    .sgpr_spill_count: 0
    .symbol:         _Z18warp_reduce_kernelILb0EdLj61ELj100EEvPKT0_PS0_.kd
    .uniform_work_group_size: 1
    .uses_dynamic_stack: false
    .vgpr_count:     8
    .vgpr_spill_count: 0
    .wavefront_size: 64
  - .agpr_count:     0
    .args:
      - .address_space:  global
        .offset:         0
        .size:           8
        .value_kind:     global_buffer
      - .address_space:  global
        .offset:         8
        .size:           8
        .value_kind:     global_buffer
      - .offset:         16
        .size:           4
        .value_kind:     hidden_block_count_x
      - .offset:         20
        .size:           4
        .value_kind:     hidden_block_count_y
      - .offset:         24
        .size:           4
        .value_kind:     hidden_block_count_z
      - .offset:         28
        .size:           2
        .value_kind:     hidden_group_size_x
      - .offset:         30
        .size:           2
        .value_kind:     hidden_group_size_y
      - .offset:         32
        .size:           2
        .value_kind:     hidden_group_size_z
      - .offset:         34
        .size:           2
        .value_kind:     hidden_remainder_x
      - .offset:         36
        .size:           2
        .value_kind:     hidden_remainder_y
      - .offset:         38
        .size:           2
        .value_kind:     hidden_remainder_z
      - .offset:         56
        .size:           8
        .value_kind:     hidden_global_offset_x
      - .offset:         64
        .size:           8
        .value_kind:     hidden_global_offset_y
      - .offset:         72
        .size:           8
        .value_kind:     hidden_global_offset_z
      - .offset:         80
        .size:           2
        .value_kind:     hidden_grid_dims
    .group_segment_fixed_size: 0
    .kernarg_segment_align: 8
    .kernarg_segment_size: 272
    .language:       OpenCL C
    .language_version:
      - 2
      - 0
    .max_flat_workgroup_size: 256
    .name:           _Z18warp_reduce_kernelILb0EdLj64ELj100EEvPKT0_PS0_
    .private_segment_fixed_size: 0
    .sgpr_count:     12
    .sgpr_spill_count: 0
    .symbol:         _Z18warp_reduce_kernelILb0EdLj64ELj100EEvPKT0_PS0_.kd
    .uniform_work_group_size: 1
    .uses_dynamic_stack: false
    .vgpr_count:     8
    .vgpr_spill_count: 0
    .wavefront_size: 64
  - .agpr_count:     0
    .args:
      - .address_space:  global
        .offset:         0
        .size:           8
        .value_kind:     global_buffer
      - .address_space:  global
        .offset:         8
        .size:           8
        .value_kind:     global_buffer
      - .offset:         16
        .size:           4
        .value_kind:     hidden_block_count_x
      - .offset:         20
        .size:           4
        .value_kind:     hidden_block_count_y
      - .offset:         24
        .size:           4
        .value_kind:     hidden_block_count_z
      - .offset:         28
        .size:           2
        .value_kind:     hidden_group_size_x
      - .offset:         30
        .size:           2
        .value_kind:     hidden_group_size_y
      - .offset:         32
        .size:           2
        .value_kind:     hidden_group_size_z
      - .offset:         34
        .size:           2
        .value_kind:     hidden_remainder_x
      - .offset:         36
        .size:           2
        .value_kind:     hidden_remainder_y
      - .offset:         38
        .size:           2
        .value_kind:     hidden_remainder_z
      - .offset:         56
        .size:           8
        .value_kind:     hidden_global_offset_x
      - .offset:         64
        .size:           8
        .value_kind:     hidden_global_offset_y
      - .offset:         72
        .size:           8
        .value_kind:     hidden_global_offset_z
      - .offset:         80
        .size:           2
        .value_kind:     hidden_grid_dims
    .group_segment_fixed_size: 0
    .kernarg_segment_align: 8
    .kernarg_segment_size: 272
    .language:       OpenCL C
    .language_version:
      - 2
      - 0
    .max_flat_workgroup_size: 256
    .name:           _Z18warp_reduce_kernelILb0EaLj32ELj100EEvPKT0_PS0_
    .private_segment_fixed_size: 0
    .sgpr_count:     12
    .sgpr_spill_count: 0
    .symbol:         _Z18warp_reduce_kernelILb0EaLj32ELj100EEvPKT0_PS0_.kd
    .uniform_work_group_size: 1
    .uses_dynamic_stack: false
    .vgpr_count:     8
    .vgpr_spill_count: 0
    .wavefront_size: 64
  - .agpr_count:     0
    .args:
      - .address_space:  global
        .offset:         0
        .size:           8
        .value_kind:     global_buffer
      - .address_space:  global
        .offset:         8
        .size:           8
        .value_kind:     global_buffer
      - .offset:         16
        .size:           4
        .value_kind:     hidden_block_count_x
      - .offset:         20
        .size:           4
        .value_kind:     hidden_block_count_y
      - .offset:         24
        .size:           4
        .value_kind:     hidden_block_count_z
      - .offset:         28
        .size:           2
        .value_kind:     hidden_group_size_x
      - .offset:         30
        .size:           2
        .value_kind:     hidden_group_size_y
      - .offset:         32
        .size:           2
        .value_kind:     hidden_group_size_z
      - .offset:         34
        .size:           2
        .value_kind:     hidden_remainder_x
      - .offset:         36
        .size:           2
        .value_kind:     hidden_remainder_y
      - .offset:         38
        .size:           2
        .value_kind:     hidden_remainder_z
      - .offset:         56
        .size:           8
        .value_kind:     hidden_global_offset_x
      - .offset:         64
        .size:           8
        .value_kind:     hidden_global_offset_y
      - .offset:         72
        .size:           8
        .value_kind:     hidden_global_offset_z
      - .offset:         80
        .size:           2
        .value_kind:     hidden_grid_dims
    .group_segment_fixed_size: 37
    .kernarg_segment_align: 8
    .kernarg_segment_size: 272
    .language:       OpenCL C
    .language_version:
      - 2
      - 0
    .max_flat_workgroup_size: 256
    .name:           _Z18warp_reduce_kernelILb0EaLj37ELj100EEvPKT0_PS0_
    .private_segment_fixed_size: 0
    .sgpr_count:     19
    .sgpr_spill_count: 0
    .symbol:         _Z18warp_reduce_kernelILb0EaLj37ELj100EEvPKT0_PS0_.kd
    .uniform_work_group_size: 1
    .uses_dynamic_stack: false
    .vgpr_count:     5
    .vgpr_spill_count: 0
    .wavefront_size: 64
  - .agpr_count:     0
    .args:
      - .address_space:  global
        .offset:         0
        .size:           8
        .value_kind:     global_buffer
      - .address_space:  global
        .offset:         8
        .size:           8
        .value_kind:     global_buffer
      - .offset:         16
        .size:           4
        .value_kind:     hidden_block_count_x
      - .offset:         20
        .size:           4
        .value_kind:     hidden_block_count_y
      - .offset:         24
        .size:           4
        .value_kind:     hidden_block_count_z
      - .offset:         28
        .size:           2
        .value_kind:     hidden_group_size_x
      - .offset:         30
        .size:           2
        .value_kind:     hidden_group_size_y
      - .offset:         32
        .size:           2
        .value_kind:     hidden_group_size_z
      - .offset:         34
        .size:           2
        .value_kind:     hidden_remainder_x
      - .offset:         36
        .size:           2
        .value_kind:     hidden_remainder_y
      - .offset:         38
        .size:           2
        .value_kind:     hidden_remainder_z
      - .offset:         56
        .size:           8
        .value_kind:     hidden_global_offset_x
      - .offset:         64
        .size:           8
        .value_kind:     hidden_global_offset_y
      - .offset:         72
        .size:           8
        .value_kind:     hidden_global_offset_z
      - .offset:         80
        .size:           2
        .value_kind:     hidden_grid_dims
    .group_segment_fixed_size: 61
    .kernarg_segment_align: 8
    .kernarg_segment_size: 272
    .language:       OpenCL C
    .language_version:
      - 2
      - 0
    .max_flat_workgroup_size: 256
    .name:           _Z18warp_reduce_kernelILb0EaLj61ELj100EEvPKT0_PS0_
    .private_segment_fixed_size: 0
    .sgpr_count:     19
    .sgpr_spill_count: 0
    .symbol:         _Z18warp_reduce_kernelILb0EaLj61ELj100EEvPKT0_PS0_.kd
    .uniform_work_group_size: 1
    .uses_dynamic_stack: false
    .vgpr_count:     5
    .vgpr_spill_count: 0
    .wavefront_size: 64
  - .agpr_count:     0
    .args:
      - .address_space:  global
        .offset:         0
        .size:           8
        .value_kind:     global_buffer
      - .address_space:  global
        .offset:         8
        .size:           8
        .value_kind:     global_buffer
      - .offset:         16
        .size:           4
        .value_kind:     hidden_block_count_x
      - .offset:         20
        .size:           4
        .value_kind:     hidden_block_count_y
      - .offset:         24
        .size:           4
        .value_kind:     hidden_block_count_z
      - .offset:         28
        .size:           2
        .value_kind:     hidden_group_size_x
      - .offset:         30
        .size:           2
        .value_kind:     hidden_group_size_y
      - .offset:         32
        .size:           2
        .value_kind:     hidden_group_size_z
      - .offset:         34
        .size:           2
        .value_kind:     hidden_remainder_x
      - .offset:         36
        .size:           2
        .value_kind:     hidden_remainder_y
      - .offset:         38
        .size:           2
        .value_kind:     hidden_remainder_z
      - .offset:         56
        .size:           8
        .value_kind:     hidden_global_offset_x
      - .offset:         64
        .size:           8
        .value_kind:     hidden_global_offset_y
      - .offset:         72
        .size:           8
        .value_kind:     hidden_global_offset_z
      - .offset:         80
        .size:           2
        .value_kind:     hidden_grid_dims
    .group_segment_fixed_size: 0
    .kernarg_segment_align: 8
    .kernarg_segment_size: 272
    .language:       OpenCL C
    .language_version:
      - 2
      - 0
    .max_flat_workgroup_size: 256
    .name:           _Z18warp_reduce_kernelILb0EaLj64ELj100EEvPKT0_PS0_
    .private_segment_fixed_size: 0
    .sgpr_count:     12
    .sgpr_spill_count: 0
    .symbol:         _Z18warp_reduce_kernelILb0EaLj64ELj100EEvPKT0_PS0_.kd
    .uniform_work_group_size: 1
    .uses_dynamic_stack: false
    .vgpr_count:     4
    .vgpr_spill_count: 0
    .wavefront_size: 64
  - .agpr_count:     0
    .args:
      - .address_space:  global
        .offset:         0
        .size:           8
        .value_kind:     global_buffer
      - .address_space:  global
        .offset:         8
        .size:           8
        .value_kind:     global_buffer
      - .offset:         16
        .size:           4
        .value_kind:     hidden_block_count_x
      - .offset:         20
        .size:           4
        .value_kind:     hidden_block_count_y
      - .offset:         24
        .size:           4
        .value_kind:     hidden_block_count_z
      - .offset:         28
        .size:           2
        .value_kind:     hidden_group_size_x
      - .offset:         30
        .size:           2
        .value_kind:     hidden_group_size_y
      - .offset:         32
        .size:           2
        .value_kind:     hidden_group_size_z
      - .offset:         34
        .size:           2
        .value_kind:     hidden_remainder_x
      - .offset:         36
        .size:           2
        .value_kind:     hidden_remainder_y
      - .offset:         38
        .size:           2
        .value_kind:     hidden_remainder_z
      - .offset:         56
        .size:           8
        .value_kind:     hidden_global_offset_x
      - .offset:         64
        .size:           8
        .value_kind:     hidden_global_offset_y
      - .offset:         72
        .size:           8
        .value_kind:     hidden_global_offset_z
      - .offset:         80
        .size:           2
        .value_kind:     hidden_grid_dims
    .group_segment_fixed_size: 0
    .kernarg_segment_align: 8
    .kernarg_segment_size: 272
    .language:       OpenCL C
    .language_version:
      - 2
      - 0
    .max_flat_workgroup_size: 256
    .name:           _Z18warp_reduce_kernelILb0EhLj32ELj100EEvPKT0_PS0_
    .private_segment_fixed_size: 0
    .sgpr_count:     12
    .sgpr_spill_count: 0
    .symbol:         _Z18warp_reduce_kernelILb0EhLj32ELj100EEvPKT0_PS0_.kd
    .uniform_work_group_size: 1
    .uses_dynamic_stack: false
    .vgpr_count:     8
    .vgpr_spill_count: 0
    .wavefront_size: 64
  - .agpr_count:     0
    .args:
      - .address_space:  global
        .offset:         0
        .size:           8
        .value_kind:     global_buffer
      - .address_space:  global
        .offset:         8
        .size:           8
        .value_kind:     global_buffer
      - .offset:         16
        .size:           4
        .value_kind:     hidden_block_count_x
      - .offset:         20
        .size:           4
        .value_kind:     hidden_block_count_y
      - .offset:         24
        .size:           4
        .value_kind:     hidden_block_count_z
      - .offset:         28
        .size:           2
        .value_kind:     hidden_group_size_x
      - .offset:         30
        .size:           2
        .value_kind:     hidden_group_size_y
      - .offset:         32
        .size:           2
        .value_kind:     hidden_group_size_z
      - .offset:         34
        .size:           2
        .value_kind:     hidden_remainder_x
      - .offset:         36
        .size:           2
        .value_kind:     hidden_remainder_y
      - .offset:         38
        .size:           2
        .value_kind:     hidden_remainder_z
      - .offset:         56
        .size:           8
        .value_kind:     hidden_global_offset_x
      - .offset:         64
        .size:           8
        .value_kind:     hidden_global_offset_y
      - .offset:         72
        .size:           8
        .value_kind:     hidden_global_offset_z
      - .offset:         80
        .size:           2
        .value_kind:     hidden_grid_dims
    .group_segment_fixed_size: 37
    .kernarg_segment_align: 8
    .kernarg_segment_size: 272
    .language:       OpenCL C
    .language_version:
      - 2
      - 0
    .max_flat_workgroup_size: 256
    .name:           _Z18warp_reduce_kernelILb0EhLj37ELj100EEvPKT0_PS0_
    .private_segment_fixed_size: 0
    .sgpr_count:     19
    .sgpr_spill_count: 0
    .symbol:         _Z18warp_reduce_kernelILb0EhLj37ELj100EEvPKT0_PS0_.kd
    .uniform_work_group_size: 1
    .uses_dynamic_stack: false
    .vgpr_count:     5
    .vgpr_spill_count: 0
    .wavefront_size: 64
  - .agpr_count:     0
    .args:
      - .address_space:  global
        .offset:         0
        .size:           8
        .value_kind:     global_buffer
      - .address_space:  global
        .offset:         8
        .size:           8
        .value_kind:     global_buffer
      - .offset:         16
        .size:           4
        .value_kind:     hidden_block_count_x
      - .offset:         20
        .size:           4
        .value_kind:     hidden_block_count_y
      - .offset:         24
        .size:           4
        .value_kind:     hidden_block_count_z
      - .offset:         28
        .size:           2
        .value_kind:     hidden_group_size_x
      - .offset:         30
        .size:           2
        .value_kind:     hidden_group_size_y
      - .offset:         32
        .size:           2
        .value_kind:     hidden_group_size_z
      - .offset:         34
        .size:           2
        .value_kind:     hidden_remainder_x
      - .offset:         36
        .size:           2
        .value_kind:     hidden_remainder_y
      - .offset:         38
        .size:           2
        .value_kind:     hidden_remainder_z
      - .offset:         56
        .size:           8
        .value_kind:     hidden_global_offset_x
      - .offset:         64
        .size:           8
        .value_kind:     hidden_global_offset_y
      - .offset:         72
        .size:           8
        .value_kind:     hidden_global_offset_z
      - .offset:         80
        .size:           2
        .value_kind:     hidden_grid_dims
    .group_segment_fixed_size: 61
    .kernarg_segment_align: 8
    .kernarg_segment_size: 272
    .language:       OpenCL C
    .language_version:
      - 2
      - 0
    .max_flat_workgroup_size: 256
    .name:           _Z18warp_reduce_kernelILb0EhLj61ELj100EEvPKT0_PS0_
    .private_segment_fixed_size: 0
    .sgpr_count:     19
    .sgpr_spill_count: 0
    .symbol:         _Z18warp_reduce_kernelILb0EhLj61ELj100EEvPKT0_PS0_.kd
    .uniform_work_group_size: 1
    .uses_dynamic_stack: false
    .vgpr_count:     5
    .vgpr_spill_count: 0
    .wavefront_size: 64
  - .agpr_count:     0
    .args:
      - .address_space:  global
        .offset:         0
        .size:           8
        .value_kind:     global_buffer
      - .address_space:  global
        .offset:         8
        .size:           8
        .value_kind:     global_buffer
      - .offset:         16
        .size:           4
        .value_kind:     hidden_block_count_x
      - .offset:         20
        .size:           4
        .value_kind:     hidden_block_count_y
      - .offset:         24
        .size:           4
        .value_kind:     hidden_block_count_z
      - .offset:         28
        .size:           2
        .value_kind:     hidden_group_size_x
      - .offset:         30
        .size:           2
        .value_kind:     hidden_group_size_y
      - .offset:         32
        .size:           2
        .value_kind:     hidden_group_size_z
      - .offset:         34
        .size:           2
        .value_kind:     hidden_remainder_x
      - .offset:         36
        .size:           2
        .value_kind:     hidden_remainder_y
      - .offset:         38
        .size:           2
        .value_kind:     hidden_remainder_z
      - .offset:         56
        .size:           8
        .value_kind:     hidden_global_offset_x
      - .offset:         64
        .size:           8
        .value_kind:     hidden_global_offset_y
      - .offset:         72
        .size:           8
        .value_kind:     hidden_global_offset_z
      - .offset:         80
        .size:           2
        .value_kind:     hidden_grid_dims
    .group_segment_fixed_size: 0
    .kernarg_segment_align: 8
    .kernarg_segment_size: 272
    .language:       OpenCL C
    .language_version:
      - 2
      - 0
    .max_flat_workgroup_size: 256
    .name:           _Z18warp_reduce_kernelILb0EhLj64ELj100EEvPKT0_PS0_
    .private_segment_fixed_size: 0
    .sgpr_count:     12
    .sgpr_spill_count: 0
    .symbol:         _Z18warp_reduce_kernelILb0EhLj64ELj100EEvPKT0_PS0_.kd
    .uniform_work_group_size: 1
    .uses_dynamic_stack: false
    .vgpr_count:     4
    .vgpr_spill_count: 0
    .wavefront_size: 64
  - .agpr_count:     0
    .args:
      - .address_space:  global
        .offset:         0
        .size:           8
        .value_kind:     global_buffer
      - .address_space:  global
        .offset:         8
        .size:           8
        .value_kind:     global_buffer
      - .offset:         16
        .size:           4
        .value_kind:     hidden_block_count_x
      - .offset:         20
        .size:           4
        .value_kind:     hidden_block_count_y
      - .offset:         24
        .size:           4
        .value_kind:     hidden_block_count_z
      - .offset:         28
        .size:           2
        .value_kind:     hidden_group_size_x
      - .offset:         30
        .size:           2
        .value_kind:     hidden_group_size_y
      - .offset:         32
        .size:           2
        .value_kind:     hidden_group_size_z
      - .offset:         34
        .size:           2
        .value_kind:     hidden_remainder_x
      - .offset:         36
        .size:           2
        .value_kind:     hidden_remainder_y
      - .offset:         38
        .size:           2
        .value_kind:     hidden_remainder_z
      - .offset:         56
        .size:           8
        .value_kind:     hidden_global_offset_x
      - .offset:         64
        .size:           8
        .value_kind:     hidden_global_offset_y
      - .offset:         72
        .size:           8
        .value_kind:     hidden_global_offset_z
      - .offset:         80
        .size:           2
        .value_kind:     hidden_grid_dims
    .group_segment_fixed_size: 0
    .kernarg_segment_align: 8
    .kernarg_segment_size: 272
    .language:       OpenCL C
    .language_version:
      - 2
      - 0
    .max_flat_workgroup_size: 256
    .name:           _Z18warp_reduce_kernelILb0E6__halfLj32ELj100EEvPKT0_PS1_
    .private_segment_fixed_size: 0
    .sgpr_count:     12
    .sgpr_spill_count: 0
    .symbol:         _Z18warp_reduce_kernelILb0E6__halfLj32ELj100EEvPKT0_PS1_.kd
    .uniform_work_group_size: 1
    .uses_dynamic_stack: false
    .vgpr_count:     9
    .vgpr_spill_count: 0
    .wavefront_size: 64
  - .agpr_count:     0
    .args:
      - .address_space:  global
        .offset:         0
        .size:           8
        .value_kind:     global_buffer
      - .address_space:  global
        .offset:         8
        .size:           8
        .value_kind:     global_buffer
      - .offset:         16
        .size:           4
        .value_kind:     hidden_block_count_x
      - .offset:         20
        .size:           4
        .value_kind:     hidden_block_count_y
      - .offset:         24
        .size:           4
        .value_kind:     hidden_block_count_z
      - .offset:         28
        .size:           2
        .value_kind:     hidden_group_size_x
      - .offset:         30
        .size:           2
        .value_kind:     hidden_group_size_y
      - .offset:         32
        .size:           2
        .value_kind:     hidden_group_size_z
      - .offset:         34
        .size:           2
        .value_kind:     hidden_remainder_x
      - .offset:         36
        .size:           2
        .value_kind:     hidden_remainder_y
      - .offset:         38
        .size:           2
        .value_kind:     hidden_remainder_z
      - .offset:         56
        .size:           8
        .value_kind:     hidden_global_offset_x
      - .offset:         64
        .size:           8
        .value_kind:     hidden_global_offset_y
      - .offset:         72
        .size:           8
        .value_kind:     hidden_global_offset_z
      - .offset:         80
        .size:           2
        .value_kind:     hidden_grid_dims
    .group_segment_fixed_size: 74
    .kernarg_segment_align: 8
    .kernarg_segment_size: 272
    .language:       OpenCL C
    .language_version:
      - 2
      - 0
    .max_flat_workgroup_size: 256
    .name:           _Z18warp_reduce_kernelILb0E6__halfLj37ELj100EEvPKT0_PS1_
    .private_segment_fixed_size: 0
    .sgpr_count:     19
    .sgpr_spill_count: 0
    .symbol:         _Z18warp_reduce_kernelILb0E6__halfLj37ELj100EEvPKT0_PS1_.kd
    .uniform_work_group_size: 1
    .uses_dynamic_stack: false
    .vgpr_count:     6
    .vgpr_spill_count: 0
    .wavefront_size: 64
  - .agpr_count:     0
    .args:
      - .address_space:  global
        .offset:         0
        .size:           8
        .value_kind:     global_buffer
      - .address_space:  global
        .offset:         8
        .size:           8
        .value_kind:     global_buffer
      - .offset:         16
        .size:           4
        .value_kind:     hidden_block_count_x
      - .offset:         20
        .size:           4
        .value_kind:     hidden_block_count_y
      - .offset:         24
        .size:           4
        .value_kind:     hidden_block_count_z
      - .offset:         28
        .size:           2
        .value_kind:     hidden_group_size_x
      - .offset:         30
        .size:           2
        .value_kind:     hidden_group_size_y
      - .offset:         32
        .size:           2
        .value_kind:     hidden_group_size_z
      - .offset:         34
        .size:           2
        .value_kind:     hidden_remainder_x
      - .offset:         36
        .size:           2
        .value_kind:     hidden_remainder_y
      - .offset:         38
        .size:           2
        .value_kind:     hidden_remainder_z
      - .offset:         56
        .size:           8
        .value_kind:     hidden_global_offset_x
      - .offset:         64
        .size:           8
        .value_kind:     hidden_global_offset_y
      - .offset:         72
        .size:           8
        .value_kind:     hidden_global_offset_z
      - .offset:         80
        .size:           2
        .value_kind:     hidden_grid_dims
    .group_segment_fixed_size: 122
    .kernarg_segment_align: 8
    .kernarg_segment_size: 272
    .language:       OpenCL C
    .language_version:
      - 2
      - 0
    .max_flat_workgroup_size: 256
    .name:           _Z18warp_reduce_kernelILb0E6__halfLj61ELj100EEvPKT0_PS1_
    .private_segment_fixed_size: 0
    .sgpr_count:     19
    .sgpr_spill_count: 0
    .symbol:         _Z18warp_reduce_kernelILb0E6__halfLj61ELj100EEvPKT0_PS1_.kd
    .uniform_work_group_size: 1
    .uses_dynamic_stack: false
    .vgpr_count:     6
    .vgpr_spill_count: 0
    .wavefront_size: 64
  - .agpr_count:     0
    .args:
      - .address_space:  global
        .offset:         0
        .size:           8
        .value_kind:     global_buffer
      - .address_space:  global
        .offset:         8
        .size:           8
        .value_kind:     global_buffer
      - .offset:         16
        .size:           4
        .value_kind:     hidden_block_count_x
      - .offset:         20
        .size:           4
        .value_kind:     hidden_block_count_y
      - .offset:         24
        .size:           4
        .value_kind:     hidden_block_count_z
      - .offset:         28
        .size:           2
        .value_kind:     hidden_group_size_x
      - .offset:         30
        .size:           2
        .value_kind:     hidden_group_size_y
      - .offset:         32
        .size:           2
        .value_kind:     hidden_group_size_z
      - .offset:         34
        .size:           2
        .value_kind:     hidden_remainder_x
      - .offset:         36
        .size:           2
        .value_kind:     hidden_remainder_y
      - .offset:         38
        .size:           2
        .value_kind:     hidden_remainder_z
      - .offset:         56
        .size:           8
        .value_kind:     hidden_global_offset_x
      - .offset:         64
        .size:           8
        .value_kind:     hidden_global_offset_y
      - .offset:         72
        .size:           8
        .value_kind:     hidden_global_offset_z
      - .offset:         80
        .size:           2
        .value_kind:     hidden_grid_dims
    .group_segment_fixed_size: 0
    .kernarg_segment_align: 8
    .kernarg_segment_size: 272
    .language:       OpenCL C
    .language_version:
      - 2
      - 0
    .max_flat_workgroup_size: 256
    .name:           _Z18warp_reduce_kernelILb0E6__halfLj64ELj100EEvPKT0_PS1_
    .private_segment_fixed_size: 0
    .sgpr_count:     12
    .sgpr_spill_count: 0
    .symbol:         _Z18warp_reduce_kernelILb0E6__halfLj64ELj100EEvPKT0_PS1_.kd
    .uniform_work_group_size: 1
    .uses_dynamic_stack: false
    .vgpr_count:     5
    .vgpr_spill_count: 0
    .wavefront_size: 64
  - .agpr_count:     0
    .args:
      - .address_space:  global
        .offset:         0
        .size:           8
        .value_kind:     global_buffer
      - .address_space:  global
        .offset:         8
        .size:           8
        .value_kind:     global_buffer
      - .offset:         16
        .size:           4
        .value_kind:     hidden_block_count_x
      - .offset:         20
        .size:           4
        .value_kind:     hidden_block_count_y
      - .offset:         24
        .size:           4
        .value_kind:     hidden_block_count_z
      - .offset:         28
        .size:           2
        .value_kind:     hidden_group_size_x
      - .offset:         30
        .size:           2
        .value_kind:     hidden_group_size_y
      - .offset:         32
        .size:           2
        .value_kind:     hidden_group_size_z
      - .offset:         34
        .size:           2
        .value_kind:     hidden_remainder_x
      - .offset:         36
        .size:           2
        .value_kind:     hidden_remainder_y
      - .offset:         38
        .size:           2
        .value_kind:     hidden_remainder_z
      - .offset:         56
        .size:           8
        .value_kind:     hidden_global_offset_x
      - .offset:         64
        .size:           8
        .value_kind:     hidden_global_offset_y
      - .offset:         72
        .size:           8
        .value_kind:     hidden_global_offset_z
      - .offset:         80
        .size:           2
        .value_kind:     hidden_grid_dims
    .group_segment_fixed_size: 0
    .kernarg_segment_align: 8
    .kernarg_segment_size: 272
    .language:       OpenCL C
    .language_version:
      - 2
      - 0
    .max_flat_workgroup_size: 256
    .name:           _Z18warp_reduce_kernelILb0EnLj32ELj100EEvPKT0_PS0_
    .private_segment_fixed_size: 0
    .sgpr_count:     12
    .sgpr_spill_count: 0
    .symbol:         _Z18warp_reduce_kernelILb0EnLj32ELj100EEvPKT0_PS0_.kd
    .uniform_work_group_size: 1
    .uses_dynamic_stack: false
    .vgpr_count:     15
    .vgpr_spill_count: 0
    .wavefront_size: 64
  - .agpr_count:     0
    .args:
      - .address_space:  global
        .offset:         0
        .size:           8
        .value_kind:     global_buffer
      - .address_space:  global
        .offset:         8
        .size:           8
        .value_kind:     global_buffer
      - .offset:         16
        .size:           4
        .value_kind:     hidden_block_count_x
      - .offset:         20
        .size:           4
        .value_kind:     hidden_block_count_y
      - .offset:         24
        .size:           4
        .value_kind:     hidden_block_count_z
      - .offset:         28
        .size:           2
        .value_kind:     hidden_group_size_x
      - .offset:         30
        .size:           2
        .value_kind:     hidden_group_size_y
      - .offset:         32
        .size:           2
        .value_kind:     hidden_group_size_z
      - .offset:         34
        .size:           2
        .value_kind:     hidden_remainder_x
      - .offset:         36
        .size:           2
        .value_kind:     hidden_remainder_y
      - .offset:         38
        .size:           2
        .value_kind:     hidden_remainder_z
      - .offset:         56
        .size:           8
        .value_kind:     hidden_global_offset_x
      - .offset:         64
        .size:           8
        .value_kind:     hidden_global_offset_y
      - .offset:         72
        .size:           8
        .value_kind:     hidden_global_offset_z
      - .offset:         80
        .size:           2
        .value_kind:     hidden_grid_dims
    .group_segment_fixed_size: 592
    .kernarg_segment_align: 8
    .kernarg_segment_size: 272
    .language:       OpenCL C
    .language_version:
      - 2
      - 0
    .max_flat_workgroup_size: 256
    .name:           _Z18warp_reduce_kernelILb0EnLj37ELj100EEvPKT0_PS0_
    .private_segment_fixed_size: 0
    .sgpr_count:     21
    .sgpr_spill_count: 0
    .symbol:         _Z18warp_reduce_kernelILb0EnLj37ELj100EEvPKT0_PS0_.kd
    .uniform_work_group_size: 1
    .uses_dynamic_stack: false
    .vgpr_count:     12
    .vgpr_spill_count: 0
    .wavefront_size: 64
  - .agpr_count:     0
    .args:
      - .address_space:  global
        .offset:         0
        .size:           8
        .value_kind:     global_buffer
      - .address_space:  global
        .offset:         8
        .size:           8
        .value_kind:     global_buffer
      - .offset:         16
        .size:           4
        .value_kind:     hidden_block_count_x
      - .offset:         20
        .size:           4
        .value_kind:     hidden_block_count_y
      - .offset:         24
        .size:           4
        .value_kind:     hidden_block_count_z
      - .offset:         28
        .size:           2
        .value_kind:     hidden_group_size_x
      - .offset:         30
        .size:           2
        .value_kind:     hidden_group_size_y
      - .offset:         32
        .size:           2
        .value_kind:     hidden_group_size_z
      - .offset:         34
        .size:           2
        .value_kind:     hidden_remainder_x
      - .offset:         36
        .size:           2
        .value_kind:     hidden_remainder_y
      - .offset:         38
        .size:           2
        .value_kind:     hidden_remainder_z
      - .offset:         56
        .size:           8
        .value_kind:     hidden_global_offset_x
      - .offset:         64
        .size:           8
        .value_kind:     hidden_global_offset_y
      - .offset:         72
        .size:           8
        .value_kind:     hidden_global_offset_z
      - .offset:         80
        .size:           2
        .value_kind:     hidden_grid_dims
    .group_segment_fixed_size: 976
    .kernarg_segment_align: 8
    .kernarg_segment_size: 272
    .language:       OpenCL C
    .language_version:
      - 2
      - 0
    .max_flat_workgroup_size: 256
    .name:           _Z18warp_reduce_kernelILb0EnLj61ELj100EEvPKT0_PS0_
    .private_segment_fixed_size: 0
    .sgpr_count:     21
    .sgpr_spill_count: 0
    .symbol:         _Z18warp_reduce_kernelILb0EnLj61ELj100EEvPKT0_PS0_.kd
    .uniform_work_group_size: 1
    .uses_dynamic_stack: false
    .vgpr_count:     12
    .vgpr_spill_count: 0
    .wavefront_size: 64
  - .agpr_count:     0
    .args:
      - .address_space:  global
        .offset:         0
        .size:           8
        .value_kind:     global_buffer
      - .address_space:  global
        .offset:         8
        .size:           8
        .value_kind:     global_buffer
      - .offset:         16
        .size:           4
        .value_kind:     hidden_block_count_x
      - .offset:         20
        .size:           4
        .value_kind:     hidden_block_count_y
      - .offset:         24
        .size:           4
        .value_kind:     hidden_block_count_z
      - .offset:         28
        .size:           2
        .value_kind:     hidden_group_size_x
      - .offset:         30
        .size:           2
        .value_kind:     hidden_group_size_y
      - .offset:         32
        .size:           2
        .value_kind:     hidden_group_size_z
      - .offset:         34
        .size:           2
        .value_kind:     hidden_remainder_x
      - .offset:         36
        .size:           2
        .value_kind:     hidden_remainder_y
      - .offset:         38
        .size:           2
        .value_kind:     hidden_remainder_z
      - .offset:         56
        .size:           8
        .value_kind:     hidden_global_offset_x
      - .offset:         64
        .size:           8
        .value_kind:     hidden_global_offset_y
      - .offset:         72
        .size:           8
        .value_kind:     hidden_global_offset_z
      - .offset:         80
        .size:           2
        .value_kind:     hidden_grid_dims
    .group_segment_fixed_size: 0
    .kernarg_segment_align: 8
    .kernarg_segment_size: 272
    .language:       OpenCL C
    .language_version:
      - 2
      - 0
    .max_flat_workgroup_size: 256
    .name:           _Z18warp_reduce_kernelILb0EnLj64ELj100EEvPKT0_PS0_
    .private_segment_fixed_size: 0
    .sgpr_count:     12
    .sgpr_spill_count: 0
    .symbol:         _Z18warp_reduce_kernelILb0EnLj64ELj100EEvPKT0_PS0_.kd
    .uniform_work_group_size: 1
    .uses_dynamic_stack: false
    .vgpr_count:     11
    .vgpr_spill_count: 0
    .wavefront_size: 64
  - .agpr_count:     0
    .args:
      - .address_space:  global
        .offset:         0
        .size:           8
        .value_kind:     global_buffer
      - .address_space:  global
        .offset:         8
        .size:           8
        .value_kind:     global_buffer
      - .offset:         16
        .size:           4
        .value_kind:     hidden_block_count_x
      - .offset:         20
        .size:           4
        .value_kind:     hidden_block_count_y
      - .offset:         24
        .size:           4
        .value_kind:     hidden_block_count_z
      - .offset:         28
        .size:           2
        .value_kind:     hidden_group_size_x
      - .offset:         30
        .size:           2
        .value_kind:     hidden_group_size_y
      - .offset:         32
        .size:           2
        .value_kind:     hidden_group_size_z
      - .offset:         34
        .size:           2
        .value_kind:     hidden_remainder_x
      - .offset:         36
        .size:           2
        .value_kind:     hidden_remainder_y
      - .offset:         38
        .size:           2
        .value_kind:     hidden_remainder_z
      - .offset:         56
        .size:           8
        .value_kind:     hidden_global_offset_x
      - .offset:         64
        .size:           8
        .value_kind:     hidden_global_offset_y
      - .offset:         72
        .size:           8
        .value_kind:     hidden_global_offset_z
      - .offset:         80
        .size:           2
        .value_kind:     hidden_grid_dims
    .group_segment_fixed_size: 0
    .kernarg_segment_align: 8
    .kernarg_segment_size: 272
    .language:       OpenCL C
    .language_version:
      - 2
      - 0
    .max_flat_workgroup_size: 256
    .name:           _Z18warp_reduce_kernelILb0EoLj32ELj100EEvPKT0_PS0_
    .private_segment_fixed_size: 0
    .sgpr_count:     12
    .sgpr_spill_count: 0
    .symbol:         _Z18warp_reduce_kernelILb0EoLj32ELj100EEvPKT0_PS0_.kd
    .uniform_work_group_size: 1
    .uses_dynamic_stack: false
    .vgpr_count:     15
    .vgpr_spill_count: 0
    .wavefront_size: 64
  - .agpr_count:     0
    .args:
      - .address_space:  global
        .offset:         0
        .size:           8
        .value_kind:     global_buffer
      - .address_space:  global
        .offset:         8
        .size:           8
        .value_kind:     global_buffer
      - .offset:         16
        .size:           4
        .value_kind:     hidden_block_count_x
      - .offset:         20
        .size:           4
        .value_kind:     hidden_block_count_y
      - .offset:         24
        .size:           4
        .value_kind:     hidden_block_count_z
      - .offset:         28
        .size:           2
        .value_kind:     hidden_group_size_x
      - .offset:         30
        .size:           2
        .value_kind:     hidden_group_size_y
      - .offset:         32
        .size:           2
        .value_kind:     hidden_group_size_z
      - .offset:         34
        .size:           2
        .value_kind:     hidden_remainder_x
      - .offset:         36
        .size:           2
        .value_kind:     hidden_remainder_y
      - .offset:         38
        .size:           2
        .value_kind:     hidden_remainder_z
      - .offset:         56
        .size:           8
        .value_kind:     hidden_global_offset_x
      - .offset:         64
        .size:           8
        .value_kind:     hidden_global_offset_y
      - .offset:         72
        .size:           8
        .value_kind:     hidden_global_offset_z
      - .offset:         80
        .size:           2
        .value_kind:     hidden_grid_dims
    .group_segment_fixed_size: 592
    .kernarg_segment_align: 8
    .kernarg_segment_size: 272
    .language:       OpenCL C
    .language_version:
      - 2
      - 0
    .max_flat_workgroup_size: 256
    .name:           _Z18warp_reduce_kernelILb0EoLj37ELj100EEvPKT0_PS0_
    .private_segment_fixed_size: 0
    .sgpr_count:     21
    .sgpr_spill_count: 0
    .symbol:         _Z18warp_reduce_kernelILb0EoLj37ELj100EEvPKT0_PS0_.kd
    .uniform_work_group_size: 1
    .uses_dynamic_stack: false
    .vgpr_count:     12
    .vgpr_spill_count: 0
    .wavefront_size: 64
  - .agpr_count:     0
    .args:
      - .address_space:  global
        .offset:         0
        .size:           8
        .value_kind:     global_buffer
      - .address_space:  global
        .offset:         8
        .size:           8
        .value_kind:     global_buffer
      - .offset:         16
        .size:           4
        .value_kind:     hidden_block_count_x
      - .offset:         20
        .size:           4
        .value_kind:     hidden_block_count_y
      - .offset:         24
        .size:           4
        .value_kind:     hidden_block_count_z
      - .offset:         28
        .size:           2
        .value_kind:     hidden_group_size_x
      - .offset:         30
        .size:           2
        .value_kind:     hidden_group_size_y
      - .offset:         32
        .size:           2
        .value_kind:     hidden_group_size_z
      - .offset:         34
        .size:           2
        .value_kind:     hidden_remainder_x
      - .offset:         36
        .size:           2
        .value_kind:     hidden_remainder_y
      - .offset:         38
        .size:           2
        .value_kind:     hidden_remainder_z
      - .offset:         56
        .size:           8
        .value_kind:     hidden_global_offset_x
      - .offset:         64
        .size:           8
        .value_kind:     hidden_global_offset_y
      - .offset:         72
        .size:           8
        .value_kind:     hidden_global_offset_z
      - .offset:         80
        .size:           2
        .value_kind:     hidden_grid_dims
    .group_segment_fixed_size: 976
    .kernarg_segment_align: 8
    .kernarg_segment_size: 272
    .language:       OpenCL C
    .language_version:
      - 2
      - 0
    .max_flat_workgroup_size: 256
    .name:           _Z18warp_reduce_kernelILb0EoLj61ELj100EEvPKT0_PS0_
    .private_segment_fixed_size: 0
    .sgpr_count:     21
    .sgpr_spill_count: 0
    .symbol:         _Z18warp_reduce_kernelILb0EoLj61ELj100EEvPKT0_PS0_.kd
    .uniform_work_group_size: 1
    .uses_dynamic_stack: false
    .vgpr_count:     12
    .vgpr_spill_count: 0
    .wavefront_size: 64
  - .agpr_count:     0
    .args:
      - .address_space:  global
        .offset:         0
        .size:           8
        .value_kind:     global_buffer
      - .address_space:  global
        .offset:         8
        .size:           8
        .value_kind:     global_buffer
      - .offset:         16
        .size:           4
        .value_kind:     hidden_block_count_x
      - .offset:         20
        .size:           4
        .value_kind:     hidden_block_count_y
      - .offset:         24
        .size:           4
        .value_kind:     hidden_block_count_z
      - .offset:         28
        .size:           2
        .value_kind:     hidden_group_size_x
      - .offset:         30
        .size:           2
        .value_kind:     hidden_group_size_y
      - .offset:         32
        .size:           2
        .value_kind:     hidden_group_size_z
      - .offset:         34
        .size:           2
        .value_kind:     hidden_remainder_x
      - .offset:         36
        .size:           2
        .value_kind:     hidden_remainder_y
      - .offset:         38
        .size:           2
        .value_kind:     hidden_remainder_z
      - .offset:         56
        .size:           8
        .value_kind:     hidden_global_offset_x
      - .offset:         64
        .size:           8
        .value_kind:     hidden_global_offset_y
      - .offset:         72
        .size:           8
        .value_kind:     hidden_global_offset_z
      - .offset:         80
        .size:           2
        .value_kind:     hidden_grid_dims
    .group_segment_fixed_size: 0
    .kernarg_segment_align: 8
    .kernarg_segment_size: 272
    .language:       OpenCL C
    .language_version:
      - 2
      - 0
    .max_flat_workgroup_size: 256
    .name:           _Z18warp_reduce_kernelILb0EoLj64ELj100EEvPKT0_PS0_
    .private_segment_fixed_size: 0
    .sgpr_count:     12
    .sgpr_spill_count: 0
    .symbol:         _Z18warp_reduce_kernelILb0EoLj64ELj100EEvPKT0_PS0_.kd
    .uniform_work_group_size: 1
    .uses_dynamic_stack: false
    .vgpr_count:     11
    .vgpr_spill_count: 0
    .wavefront_size: 64
  - .agpr_count:     0
    .args:
      - .address_space:  global
        .offset:         0
        .size:           8
        .value_kind:     global_buffer
      - .address_space:  global
        .offset:         8
        .size:           8
        .value_kind:     global_buffer
      - .offset:         16
        .size:           4
        .value_kind:     hidden_block_count_x
      - .offset:         20
        .size:           4
        .value_kind:     hidden_block_count_y
      - .offset:         24
        .size:           4
        .value_kind:     hidden_block_count_z
      - .offset:         28
        .size:           2
        .value_kind:     hidden_group_size_x
      - .offset:         30
        .size:           2
        .value_kind:     hidden_group_size_y
      - .offset:         32
        .size:           2
        .value_kind:     hidden_group_size_z
      - .offset:         34
        .size:           2
        .value_kind:     hidden_remainder_x
      - .offset:         36
        .size:           2
        .value_kind:     hidden_remainder_y
      - .offset:         38
        .size:           2
        .value_kind:     hidden_remainder_z
      - .offset:         56
        .size:           8
        .value_kind:     hidden_global_offset_x
      - .offset:         64
        .size:           8
        .value_kind:     hidden_global_offset_y
      - .offset:         72
        .size:           8
        .value_kind:     hidden_global_offset_z
      - .offset:         80
        .size:           2
        .value_kind:     hidden_grid_dims
    .group_segment_fixed_size: 0
    .kernarg_segment_align: 8
    .kernarg_segment_size: 272
    .language:       OpenCL C
    .language_version:
      - 2
      - 0
    .max_flat_workgroup_size: 256
    .name:           _Z18warp_reduce_kernelILb1EiLj32ELj100EEvPKT0_PS0_
    .private_segment_fixed_size: 0
    .sgpr_count:     12
    .sgpr_spill_count: 0
    .symbol:         _Z18warp_reduce_kernelILb1EiLj32ELj100EEvPKT0_PS0_.kd
    .uniform_work_group_size: 1
    .uses_dynamic_stack: false
    .vgpr_count:     10
    .vgpr_spill_count: 0
    .wavefront_size: 64
  - .agpr_count:     0
    .args:
      - .address_space:  global
        .offset:         0
        .size:           8
        .value_kind:     global_buffer
      - .address_space:  global
        .offset:         8
        .size:           8
        .value_kind:     global_buffer
      - .offset:         16
        .size:           4
        .value_kind:     hidden_block_count_x
      - .offset:         20
        .size:           4
        .value_kind:     hidden_block_count_y
      - .offset:         24
        .size:           4
        .value_kind:     hidden_block_count_z
      - .offset:         28
        .size:           2
        .value_kind:     hidden_group_size_x
      - .offset:         30
        .size:           2
        .value_kind:     hidden_group_size_y
      - .offset:         32
        .size:           2
        .value_kind:     hidden_group_size_z
      - .offset:         34
        .size:           2
        .value_kind:     hidden_remainder_x
      - .offset:         36
        .size:           2
        .value_kind:     hidden_remainder_y
      - .offset:         38
        .size:           2
        .value_kind:     hidden_remainder_z
      - .offset:         56
        .size:           8
        .value_kind:     hidden_global_offset_x
      - .offset:         64
        .size:           8
        .value_kind:     hidden_global_offset_y
      - .offset:         72
        .size:           8
        .value_kind:     hidden_global_offset_z
      - .offset:         80
        .size:           2
        .value_kind:     hidden_grid_dims
    .group_segment_fixed_size: 148
    .kernarg_segment_align: 8
    .kernarg_segment_size: 272
    .language:       OpenCL C
    .language_version:
      - 2
      - 0
    .max_flat_workgroup_size: 256
    .name:           _Z18warp_reduce_kernelILb1EiLj37ELj100EEvPKT0_PS0_
    .private_segment_fixed_size: 0
    .sgpr_count:     19
    .sgpr_spill_count: 0
    .symbol:         _Z18warp_reduce_kernelILb1EiLj37ELj100EEvPKT0_PS0_.kd
    .uniform_work_group_size: 1
    .uses_dynamic_stack: false
    .vgpr_count:     6
    .vgpr_spill_count: 0
    .wavefront_size: 64
  - .agpr_count:     0
    .args:
      - .address_space:  global
        .offset:         0
        .size:           8
        .value_kind:     global_buffer
      - .address_space:  global
        .offset:         8
        .size:           8
        .value_kind:     global_buffer
      - .offset:         16
        .size:           4
        .value_kind:     hidden_block_count_x
      - .offset:         20
        .size:           4
        .value_kind:     hidden_block_count_y
      - .offset:         24
        .size:           4
        .value_kind:     hidden_block_count_z
      - .offset:         28
        .size:           2
        .value_kind:     hidden_group_size_x
      - .offset:         30
        .size:           2
        .value_kind:     hidden_group_size_y
      - .offset:         32
        .size:           2
        .value_kind:     hidden_group_size_z
      - .offset:         34
        .size:           2
        .value_kind:     hidden_remainder_x
      - .offset:         36
        .size:           2
        .value_kind:     hidden_remainder_y
      - .offset:         38
        .size:           2
        .value_kind:     hidden_remainder_z
      - .offset:         56
        .size:           8
        .value_kind:     hidden_global_offset_x
      - .offset:         64
        .size:           8
        .value_kind:     hidden_global_offset_y
      - .offset:         72
        .size:           8
        .value_kind:     hidden_global_offset_z
      - .offset:         80
        .size:           2
        .value_kind:     hidden_grid_dims
    .group_segment_fixed_size: 244
    .kernarg_segment_align: 8
    .kernarg_segment_size: 272
    .language:       OpenCL C
    .language_version:
      - 2
      - 0
    .max_flat_workgroup_size: 256
    .name:           _Z18warp_reduce_kernelILb1EiLj61ELj100EEvPKT0_PS0_
    .private_segment_fixed_size: 0
    .sgpr_count:     19
    .sgpr_spill_count: 0
    .symbol:         _Z18warp_reduce_kernelILb1EiLj61ELj100EEvPKT0_PS0_.kd
    .uniform_work_group_size: 1
    .uses_dynamic_stack: false
    .vgpr_count:     6
    .vgpr_spill_count: 0
    .wavefront_size: 64
  - .agpr_count:     0
    .args:
      - .address_space:  global
        .offset:         0
        .size:           8
        .value_kind:     global_buffer
      - .address_space:  global
        .offset:         8
        .size:           8
        .value_kind:     global_buffer
      - .offset:         16
        .size:           4
        .value_kind:     hidden_block_count_x
      - .offset:         20
        .size:           4
        .value_kind:     hidden_block_count_y
      - .offset:         24
        .size:           4
        .value_kind:     hidden_block_count_z
      - .offset:         28
        .size:           2
        .value_kind:     hidden_group_size_x
      - .offset:         30
        .size:           2
        .value_kind:     hidden_group_size_y
      - .offset:         32
        .size:           2
        .value_kind:     hidden_group_size_z
      - .offset:         34
        .size:           2
        .value_kind:     hidden_remainder_x
      - .offset:         36
        .size:           2
        .value_kind:     hidden_remainder_y
      - .offset:         38
        .size:           2
        .value_kind:     hidden_remainder_z
      - .offset:         56
        .size:           8
        .value_kind:     hidden_global_offset_x
      - .offset:         64
        .size:           8
        .value_kind:     hidden_global_offset_y
      - .offset:         72
        .size:           8
        .value_kind:     hidden_global_offset_z
      - .offset:         80
        .size:           2
        .value_kind:     hidden_grid_dims
    .group_segment_fixed_size: 0
    .kernarg_segment_align: 8
    .kernarg_segment_size: 272
    .language:       OpenCL C
    .language_version:
      - 2
      - 0
    .max_flat_workgroup_size: 256
    .name:           _Z18warp_reduce_kernelILb1EiLj64ELj100EEvPKT0_PS0_
    .private_segment_fixed_size: 0
    .sgpr_count:     12
    .sgpr_spill_count: 0
    .symbol:         _Z18warp_reduce_kernelILb1EiLj64ELj100EEvPKT0_PS0_.kd
    .uniform_work_group_size: 1
    .uses_dynamic_stack: false
    .vgpr_count:     5
    .vgpr_spill_count: 0
    .wavefront_size: 64
  - .agpr_count:     0
    .args:
      - .address_space:  global
        .offset:         0
        .size:           8
        .value_kind:     global_buffer
      - .address_space:  global
        .offset:         8
        .size:           8
        .value_kind:     global_buffer
      - .offset:         16
        .size:           4
        .value_kind:     hidden_block_count_x
      - .offset:         20
        .size:           4
        .value_kind:     hidden_block_count_y
      - .offset:         24
        .size:           4
        .value_kind:     hidden_block_count_z
      - .offset:         28
        .size:           2
        .value_kind:     hidden_group_size_x
      - .offset:         30
        .size:           2
        .value_kind:     hidden_group_size_y
      - .offset:         32
        .size:           2
        .value_kind:     hidden_group_size_z
      - .offset:         34
        .size:           2
        .value_kind:     hidden_remainder_x
      - .offset:         36
        .size:           2
        .value_kind:     hidden_remainder_y
      - .offset:         38
        .size:           2
        .value_kind:     hidden_remainder_z
      - .offset:         56
        .size:           8
        .value_kind:     hidden_global_offset_x
      - .offset:         64
        .size:           8
        .value_kind:     hidden_global_offset_y
      - .offset:         72
        .size:           8
        .value_kind:     hidden_global_offset_z
      - .offset:         80
        .size:           2
        .value_kind:     hidden_grid_dims
    .group_segment_fixed_size: 0
    .kernarg_segment_align: 8
    .kernarg_segment_size: 272
    .language:       OpenCL C
    .language_version:
      - 2
      - 0
    .max_flat_workgroup_size: 256
    .name:           _Z18warp_reduce_kernelILb1EfLj32ELj100EEvPKT0_PS0_
    .private_segment_fixed_size: 0
    .sgpr_count:     12
    .sgpr_spill_count: 0
    .symbol:         _Z18warp_reduce_kernelILb1EfLj32ELj100EEvPKT0_PS0_.kd
    .uniform_work_group_size: 1
    .uses_dynamic_stack: false
    .vgpr_count:     10
    .vgpr_spill_count: 0
    .wavefront_size: 64
  - .agpr_count:     0
    .args:
      - .address_space:  global
        .offset:         0
        .size:           8
        .value_kind:     global_buffer
      - .address_space:  global
        .offset:         8
        .size:           8
        .value_kind:     global_buffer
      - .offset:         16
        .size:           4
        .value_kind:     hidden_block_count_x
      - .offset:         20
        .size:           4
        .value_kind:     hidden_block_count_y
      - .offset:         24
        .size:           4
        .value_kind:     hidden_block_count_z
      - .offset:         28
        .size:           2
        .value_kind:     hidden_group_size_x
      - .offset:         30
        .size:           2
        .value_kind:     hidden_group_size_y
      - .offset:         32
        .size:           2
        .value_kind:     hidden_group_size_z
      - .offset:         34
        .size:           2
        .value_kind:     hidden_remainder_x
      - .offset:         36
        .size:           2
        .value_kind:     hidden_remainder_y
      - .offset:         38
        .size:           2
        .value_kind:     hidden_remainder_z
      - .offset:         56
        .size:           8
        .value_kind:     hidden_global_offset_x
      - .offset:         64
        .size:           8
        .value_kind:     hidden_global_offset_y
      - .offset:         72
        .size:           8
        .value_kind:     hidden_global_offset_z
      - .offset:         80
        .size:           2
        .value_kind:     hidden_grid_dims
    .group_segment_fixed_size: 148
    .kernarg_segment_align: 8
    .kernarg_segment_size: 272
    .language:       OpenCL C
    .language_version:
      - 2
      - 0
    .max_flat_workgroup_size: 256
    .name:           _Z18warp_reduce_kernelILb1EfLj37ELj100EEvPKT0_PS0_
    .private_segment_fixed_size: 0
    .sgpr_count:     19
    .sgpr_spill_count: 0
    .symbol:         _Z18warp_reduce_kernelILb1EfLj37ELj100EEvPKT0_PS0_.kd
    .uniform_work_group_size: 1
    .uses_dynamic_stack: false
    .vgpr_count:     6
    .vgpr_spill_count: 0
    .wavefront_size: 64
  - .agpr_count:     0
    .args:
      - .address_space:  global
        .offset:         0
        .size:           8
        .value_kind:     global_buffer
      - .address_space:  global
        .offset:         8
        .size:           8
        .value_kind:     global_buffer
      - .offset:         16
        .size:           4
        .value_kind:     hidden_block_count_x
      - .offset:         20
        .size:           4
        .value_kind:     hidden_block_count_y
      - .offset:         24
        .size:           4
        .value_kind:     hidden_block_count_z
      - .offset:         28
        .size:           2
        .value_kind:     hidden_group_size_x
      - .offset:         30
        .size:           2
        .value_kind:     hidden_group_size_y
      - .offset:         32
        .size:           2
        .value_kind:     hidden_group_size_z
      - .offset:         34
        .size:           2
        .value_kind:     hidden_remainder_x
      - .offset:         36
        .size:           2
        .value_kind:     hidden_remainder_y
      - .offset:         38
        .size:           2
        .value_kind:     hidden_remainder_z
      - .offset:         56
        .size:           8
        .value_kind:     hidden_global_offset_x
      - .offset:         64
        .size:           8
        .value_kind:     hidden_global_offset_y
      - .offset:         72
        .size:           8
        .value_kind:     hidden_global_offset_z
      - .offset:         80
        .size:           2
        .value_kind:     hidden_grid_dims
    .group_segment_fixed_size: 244
    .kernarg_segment_align: 8
    .kernarg_segment_size: 272
    .language:       OpenCL C
    .language_version:
      - 2
      - 0
    .max_flat_workgroup_size: 256
    .name:           _Z18warp_reduce_kernelILb1EfLj61ELj100EEvPKT0_PS0_
    .private_segment_fixed_size: 0
    .sgpr_count:     19
    .sgpr_spill_count: 0
    .symbol:         _Z18warp_reduce_kernelILb1EfLj61ELj100EEvPKT0_PS0_.kd
    .uniform_work_group_size: 1
    .uses_dynamic_stack: false
    .vgpr_count:     6
    .vgpr_spill_count: 0
    .wavefront_size: 64
  - .agpr_count:     0
    .args:
      - .address_space:  global
        .offset:         0
        .size:           8
        .value_kind:     global_buffer
      - .address_space:  global
        .offset:         8
        .size:           8
        .value_kind:     global_buffer
      - .offset:         16
        .size:           4
        .value_kind:     hidden_block_count_x
      - .offset:         20
        .size:           4
        .value_kind:     hidden_block_count_y
      - .offset:         24
        .size:           4
        .value_kind:     hidden_block_count_z
      - .offset:         28
        .size:           2
        .value_kind:     hidden_group_size_x
      - .offset:         30
        .size:           2
        .value_kind:     hidden_group_size_y
      - .offset:         32
        .size:           2
        .value_kind:     hidden_group_size_z
      - .offset:         34
        .size:           2
        .value_kind:     hidden_remainder_x
      - .offset:         36
        .size:           2
        .value_kind:     hidden_remainder_y
      - .offset:         38
        .size:           2
        .value_kind:     hidden_remainder_z
      - .offset:         56
        .size:           8
        .value_kind:     hidden_global_offset_x
      - .offset:         64
        .size:           8
        .value_kind:     hidden_global_offset_y
      - .offset:         72
        .size:           8
        .value_kind:     hidden_global_offset_z
      - .offset:         80
        .size:           2
        .value_kind:     hidden_grid_dims
    .group_segment_fixed_size: 0
    .kernarg_segment_align: 8
    .kernarg_segment_size: 272
    .language:       OpenCL C
    .language_version:
      - 2
      - 0
    .max_flat_workgroup_size: 256
    .name:           _Z18warp_reduce_kernelILb1EfLj64ELj100EEvPKT0_PS0_
    .private_segment_fixed_size: 0
    .sgpr_count:     12
    .sgpr_spill_count: 0
    .symbol:         _Z18warp_reduce_kernelILb1EfLj64ELj100EEvPKT0_PS0_.kd
    .uniform_work_group_size: 1
    .uses_dynamic_stack: false
    .vgpr_count:     5
    .vgpr_spill_count: 0
    .wavefront_size: 64
  - .agpr_count:     0
    .args:
      - .address_space:  global
        .offset:         0
        .size:           8
        .value_kind:     global_buffer
      - .address_space:  global
        .offset:         8
        .size:           8
        .value_kind:     global_buffer
      - .offset:         16
        .size:           4
        .value_kind:     hidden_block_count_x
      - .offset:         20
        .size:           4
        .value_kind:     hidden_block_count_y
      - .offset:         24
        .size:           4
        .value_kind:     hidden_block_count_z
      - .offset:         28
        .size:           2
        .value_kind:     hidden_group_size_x
      - .offset:         30
        .size:           2
        .value_kind:     hidden_group_size_y
      - .offset:         32
        .size:           2
        .value_kind:     hidden_group_size_z
      - .offset:         34
        .size:           2
        .value_kind:     hidden_remainder_x
      - .offset:         36
        .size:           2
        .value_kind:     hidden_remainder_y
      - .offset:         38
        .size:           2
        .value_kind:     hidden_remainder_z
      - .offset:         56
        .size:           8
        .value_kind:     hidden_global_offset_x
      - .offset:         64
        .size:           8
        .value_kind:     hidden_global_offset_y
      - .offset:         72
        .size:           8
        .value_kind:     hidden_global_offset_z
      - .offset:         80
        .size:           2
        .value_kind:     hidden_grid_dims
    .group_segment_fixed_size: 0
    .kernarg_segment_align: 8
    .kernarg_segment_size: 272
    .language:       OpenCL C
    .language_version:
      - 2
      - 0
    .max_flat_workgroup_size: 256
    .name:           _Z18warp_reduce_kernelILb1EdLj32ELj100EEvPKT0_PS0_
    .private_segment_fixed_size: 0
    .sgpr_count:     12
    .sgpr_spill_count: 0
    .symbol:         _Z18warp_reduce_kernelILb1EdLj32ELj100EEvPKT0_PS0_.kd
    .uniform_work_group_size: 1
    .uses_dynamic_stack: false
    .vgpr_count:     12
    .vgpr_spill_count: 0
    .wavefront_size: 64
  - .agpr_count:     0
    .args:
      - .address_space:  global
        .offset:         0
        .size:           8
        .value_kind:     global_buffer
      - .address_space:  global
        .offset:         8
        .size:           8
        .value_kind:     global_buffer
      - .offset:         16
        .size:           4
        .value_kind:     hidden_block_count_x
      - .offset:         20
        .size:           4
        .value_kind:     hidden_block_count_y
      - .offset:         24
        .size:           4
        .value_kind:     hidden_block_count_z
      - .offset:         28
        .size:           2
        .value_kind:     hidden_group_size_x
      - .offset:         30
        .size:           2
        .value_kind:     hidden_group_size_y
      - .offset:         32
        .size:           2
        .value_kind:     hidden_group_size_z
      - .offset:         34
        .size:           2
        .value_kind:     hidden_remainder_x
      - .offset:         36
        .size:           2
        .value_kind:     hidden_remainder_y
      - .offset:         38
        .size:           2
        .value_kind:     hidden_remainder_z
      - .offset:         56
        .size:           8
        .value_kind:     hidden_global_offset_x
      - .offset:         64
        .size:           8
        .value_kind:     hidden_global_offset_y
      - .offset:         72
        .size:           8
        .value_kind:     hidden_global_offset_z
      - .offset:         80
        .size:           2
        .value_kind:     hidden_grid_dims
    .group_segment_fixed_size: 296
    .kernarg_segment_align: 8
    .kernarg_segment_size: 272
    .language:       OpenCL C
    .language_version:
      - 2
      - 0
    .max_flat_workgroup_size: 256
    .name:           _Z18warp_reduce_kernelILb1EdLj37ELj100EEvPKT0_PS0_
    .private_segment_fixed_size: 0
    .sgpr_count:     19
    .sgpr_spill_count: 0
    .symbol:         _Z18warp_reduce_kernelILb1EdLj37ELj100EEvPKT0_PS0_.kd
    .uniform_work_group_size: 1
    .uses_dynamic_stack: false
    .vgpr_count:     8
    .vgpr_spill_count: 0
    .wavefront_size: 64
  - .agpr_count:     0
    .args:
      - .address_space:  global
        .offset:         0
        .size:           8
        .value_kind:     global_buffer
      - .address_space:  global
        .offset:         8
        .size:           8
        .value_kind:     global_buffer
      - .offset:         16
        .size:           4
        .value_kind:     hidden_block_count_x
      - .offset:         20
        .size:           4
        .value_kind:     hidden_block_count_y
      - .offset:         24
        .size:           4
        .value_kind:     hidden_block_count_z
      - .offset:         28
        .size:           2
        .value_kind:     hidden_group_size_x
      - .offset:         30
        .size:           2
        .value_kind:     hidden_group_size_y
      - .offset:         32
        .size:           2
        .value_kind:     hidden_group_size_z
      - .offset:         34
        .size:           2
        .value_kind:     hidden_remainder_x
      - .offset:         36
        .size:           2
        .value_kind:     hidden_remainder_y
      - .offset:         38
        .size:           2
        .value_kind:     hidden_remainder_z
      - .offset:         56
        .size:           8
        .value_kind:     hidden_global_offset_x
      - .offset:         64
        .size:           8
        .value_kind:     hidden_global_offset_y
      - .offset:         72
        .size:           8
        .value_kind:     hidden_global_offset_z
      - .offset:         80
        .size:           2
        .value_kind:     hidden_grid_dims
    .group_segment_fixed_size: 488
    .kernarg_segment_align: 8
    .kernarg_segment_size: 272
    .language:       OpenCL C
    .language_version:
      - 2
      - 0
    .max_flat_workgroup_size: 256
    .name:           _Z18warp_reduce_kernelILb1EdLj61ELj100EEvPKT0_PS0_
    .private_segment_fixed_size: 0
    .sgpr_count:     19
    .sgpr_spill_count: 0
    .symbol:         _Z18warp_reduce_kernelILb1EdLj61ELj100EEvPKT0_PS0_.kd
    .uniform_work_group_size: 1
    .uses_dynamic_stack: false
    .vgpr_count:     8
    .vgpr_spill_count: 0
    .wavefront_size: 64
  - .agpr_count:     0
    .args:
      - .address_space:  global
        .offset:         0
        .size:           8
        .value_kind:     global_buffer
      - .address_space:  global
        .offset:         8
        .size:           8
        .value_kind:     global_buffer
      - .offset:         16
        .size:           4
        .value_kind:     hidden_block_count_x
      - .offset:         20
        .size:           4
        .value_kind:     hidden_block_count_y
      - .offset:         24
        .size:           4
        .value_kind:     hidden_block_count_z
      - .offset:         28
        .size:           2
        .value_kind:     hidden_group_size_x
      - .offset:         30
        .size:           2
        .value_kind:     hidden_group_size_y
      - .offset:         32
        .size:           2
        .value_kind:     hidden_group_size_z
      - .offset:         34
        .size:           2
        .value_kind:     hidden_remainder_x
      - .offset:         36
        .size:           2
        .value_kind:     hidden_remainder_y
      - .offset:         38
        .size:           2
        .value_kind:     hidden_remainder_z
      - .offset:         56
        .size:           8
        .value_kind:     hidden_global_offset_x
      - .offset:         64
        .size:           8
        .value_kind:     hidden_global_offset_y
      - .offset:         72
        .size:           8
        .value_kind:     hidden_global_offset_z
      - .offset:         80
        .size:           2
        .value_kind:     hidden_grid_dims
    .group_segment_fixed_size: 0
    .kernarg_segment_align: 8
    .kernarg_segment_size: 272
    .language:       OpenCL C
    .language_version:
      - 2
      - 0
    .max_flat_workgroup_size: 256
    .name:           _Z18warp_reduce_kernelILb1EdLj64ELj100EEvPKT0_PS0_
    .private_segment_fixed_size: 0
    .sgpr_count:     12
    .sgpr_spill_count: 0
    .symbol:         _Z18warp_reduce_kernelILb1EdLj64ELj100EEvPKT0_PS0_.kd
    .uniform_work_group_size: 1
    .uses_dynamic_stack: false
    .vgpr_count:     8
    .vgpr_spill_count: 0
    .wavefront_size: 64
  - .agpr_count:     0
    .args:
      - .address_space:  global
        .offset:         0
        .size:           8
        .value_kind:     global_buffer
      - .address_space:  global
        .offset:         8
        .size:           8
        .value_kind:     global_buffer
      - .offset:         16
        .size:           4
        .value_kind:     hidden_block_count_x
      - .offset:         20
        .size:           4
        .value_kind:     hidden_block_count_y
      - .offset:         24
        .size:           4
        .value_kind:     hidden_block_count_z
      - .offset:         28
        .size:           2
        .value_kind:     hidden_group_size_x
      - .offset:         30
        .size:           2
        .value_kind:     hidden_group_size_y
      - .offset:         32
        .size:           2
        .value_kind:     hidden_group_size_z
      - .offset:         34
        .size:           2
        .value_kind:     hidden_remainder_x
      - .offset:         36
        .size:           2
        .value_kind:     hidden_remainder_y
      - .offset:         38
        .size:           2
        .value_kind:     hidden_remainder_z
      - .offset:         56
        .size:           8
        .value_kind:     hidden_global_offset_x
      - .offset:         64
        .size:           8
        .value_kind:     hidden_global_offset_y
      - .offset:         72
        .size:           8
        .value_kind:     hidden_global_offset_z
      - .offset:         80
        .size:           2
        .value_kind:     hidden_grid_dims
    .group_segment_fixed_size: 0
    .kernarg_segment_align: 8
    .kernarg_segment_size: 272
    .language:       OpenCL C
    .language_version:
      - 2
      - 0
    .max_flat_workgroup_size: 256
    .name:           _Z18warp_reduce_kernelILb1EaLj32ELj100EEvPKT0_PS0_
    .private_segment_fixed_size: 0
    .sgpr_count:     12
    .sgpr_spill_count: 0
    .symbol:         _Z18warp_reduce_kernelILb1EaLj32ELj100EEvPKT0_PS0_.kd
    .uniform_work_group_size: 1
    .uses_dynamic_stack: false
    .vgpr_count:     9
    .vgpr_spill_count: 0
    .wavefront_size: 64
  - .agpr_count:     0
    .args:
      - .address_space:  global
        .offset:         0
        .size:           8
        .value_kind:     global_buffer
      - .address_space:  global
        .offset:         8
        .size:           8
        .value_kind:     global_buffer
      - .offset:         16
        .size:           4
        .value_kind:     hidden_block_count_x
      - .offset:         20
        .size:           4
        .value_kind:     hidden_block_count_y
      - .offset:         24
        .size:           4
        .value_kind:     hidden_block_count_z
      - .offset:         28
        .size:           2
        .value_kind:     hidden_group_size_x
      - .offset:         30
        .size:           2
        .value_kind:     hidden_group_size_y
      - .offset:         32
        .size:           2
        .value_kind:     hidden_group_size_z
      - .offset:         34
        .size:           2
        .value_kind:     hidden_remainder_x
      - .offset:         36
        .size:           2
        .value_kind:     hidden_remainder_y
      - .offset:         38
        .size:           2
        .value_kind:     hidden_remainder_z
      - .offset:         56
        .size:           8
        .value_kind:     hidden_global_offset_x
      - .offset:         64
        .size:           8
        .value_kind:     hidden_global_offset_y
      - .offset:         72
        .size:           8
        .value_kind:     hidden_global_offset_z
      - .offset:         80
        .size:           2
        .value_kind:     hidden_grid_dims
    .group_segment_fixed_size: 37
    .kernarg_segment_align: 8
    .kernarg_segment_size: 272
    .language:       OpenCL C
    .language_version:
      - 2
      - 0
    .max_flat_workgroup_size: 256
    .name:           _Z18warp_reduce_kernelILb1EaLj37ELj100EEvPKT0_PS0_
    .private_segment_fixed_size: 0
    .sgpr_count:     19
    .sgpr_spill_count: 0
    .symbol:         _Z18warp_reduce_kernelILb1EaLj37ELj100EEvPKT0_PS0_.kd
    .uniform_work_group_size: 1
    .uses_dynamic_stack: false
    .vgpr_count:     5
    .vgpr_spill_count: 0
    .wavefront_size: 64
  - .agpr_count:     0
    .args:
      - .address_space:  global
        .offset:         0
        .size:           8
        .value_kind:     global_buffer
      - .address_space:  global
        .offset:         8
        .size:           8
        .value_kind:     global_buffer
      - .offset:         16
        .size:           4
        .value_kind:     hidden_block_count_x
      - .offset:         20
        .size:           4
        .value_kind:     hidden_block_count_y
      - .offset:         24
        .size:           4
        .value_kind:     hidden_block_count_z
      - .offset:         28
        .size:           2
        .value_kind:     hidden_group_size_x
      - .offset:         30
        .size:           2
        .value_kind:     hidden_group_size_y
      - .offset:         32
        .size:           2
        .value_kind:     hidden_group_size_z
      - .offset:         34
        .size:           2
        .value_kind:     hidden_remainder_x
      - .offset:         36
        .size:           2
        .value_kind:     hidden_remainder_y
      - .offset:         38
        .size:           2
        .value_kind:     hidden_remainder_z
      - .offset:         56
        .size:           8
        .value_kind:     hidden_global_offset_x
      - .offset:         64
        .size:           8
        .value_kind:     hidden_global_offset_y
      - .offset:         72
        .size:           8
        .value_kind:     hidden_global_offset_z
      - .offset:         80
        .size:           2
        .value_kind:     hidden_grid_dims
    .group_segment_fixed_size: 61
    .kernarg_segment_align: 8
    .kernarg_segment_size: 272
    .language:       OpenCL C
    .language_version:
      - 2
      - 0
    .max_flat_workgroup_size: 256
    .name:           _Z18warp_reduce_kernelILb1EaLj61ELj100EEvPKT0_PS0_
    .private_segment_fixed_size: 0
    .sgpr_count:     19
    .sgpr_spill_count: 0
    .symbol:         _Z18warp_reduce_kernelILb1EaLj61ELj100EEvPKT0_PS0_.kd
    .uniform_work_group_size: 1
    .uses_dynamic_stack: false
    .vgpr_count:     5
    .vgpr_spill_count: 0
    .wavefront_size: 64
  - .agpr_count:     0
    .args:
      - .address_space:  global
        .offset:         0
        .size:           8
        .value_kind:     global_buffer
      - .address_space:  global
        .offset:         8
        .size:           8
        .value_kind:     global_buffer
      - .offset:         16
        .size:           4
        .value_kind:     hidden_block_count_x
      - .offset:         20
        .size:           4
        .value_kind:     hidden_block_count_y
      - .offset:         24
        .size:           4
        .value_kind:     hidden_block_count_z
      - .offset:         28
        .size:           2
        .value_kind:     hidden_group_size_x
      - .offset:         30
        .size:           2
        .value_kind:     hidden_group_size_y
      - .offset:         32
        .size:           2
        .value_kind:     hidden_group_size_z
      - .offset:         34
        .size:           2
        .value_kind:     hidden_remainder_x
      - .offset:         36
        .size:           2
        .value_kind:     hidden_remainder_y
      - .offset:         38
        .size:           2
        .value_kind:     hidden_remainder_z
      - .offset:         56
        .size:           8
        .value_kind:     hidden_global_offset_x
      - .offset:         64
        .size:           8
        .value_kind:     hidden_global_offset_y
      - .offset:         72
        .size:           8
        .value_kind:     hidden_global_offset_z
      - .offset:         80
        .size:           2
        .value_kind:     hidden_grid_dims
    .group_segment_fixed_size: 0
    .kernarg_segment_align: 8
    .kernarg_segment_size: 272
    .language:       OpenCL C
    .language_version:
      - 2
      - 0
    .max_flat_workgroup_size: 256
    .name:           _Z18warp_reduce_kernelILb1EaLj64ELj100EEvPKT0_PS0_
    .private_segment_fixed_size: 0
    .sgpr_count:     12
    .sgpr_spill_count: 0
    .symbol:         _Z18warp_reduce_kernelILb1EaLj64ELj100EEvPKT0_PS0_.kd
    .uniform_work_group_size: 1
    .uses_dynamic_stack: false
    .vgpr_count:     4
    .vgpr_spill_count: 0
    .wavefront_size: 64
  - .agpr_count:     0
    .args:
      - .address_space:  global
        .offset:         0
        .size:           8
        .value_kind:     global_buffer
      - .address_space:  global
        .offset:         8
        .size:           8
        .value_kind:     global_buffer
      - .offset:         16
        .size:           4
        .value_kind:     hidden_block_count_x
      - .offset:         20
        .size:           4
        .value_kind:     hidden_block_count_y
      - .offset:         24
        .size:           4
        .value_kind:     hidden_block_count_z
      - .offset:         28
        .size:           2
        .value_kind:     hidden_group_size_x
      - .offset:         30
        .size:           2
        .value_kind:     hidden_group_size_y
      - .offset:         32
        .size:           2
        .value_kind:     hidden_group_size_z
      - .offset:         34
        .size:           2
        .value_kind:     hidden_remainder_x
      - .offset:         36
        .size:           2
        .value_kind:     hidden_remainder_y
      - .offset:         38
        .size:           2
        .value_kind:     hidden_remainder_z
      - .offset:         56
        .size:           8
        .value_kind:     hidden_global_offset_x
      - .offset:         64
        .size:           8
        .value_kind:     hidden_global_offset_y
      - .offset:         72
        .size:           8
        .value_kind:     hidden_global_offset_z
      - .offset:         80
        .size:           2
        .value_kind:     hidden_grid_dims
    .group_segment_fixed_size: 0
    .kernarg_segment_align: 8
    .kernarg_segment_size: 272
    .language:       OpenCL C
    .language_version:
      - 2
      - 0
    .max_flat_workgroup_size: 256
    .name:           _Z18warp_reduce_kernelILb1EhLj32ELj100EEvPKT0_PS0_
    .private_segment_fixed_size: 0
    .sgpr_count:     12
    .sgpr_spill_count: 0
    .symbol:         _Z18warp_reduce_kernelILb1EhLj32ELj100EEvPKT0_PS0_.kd
    .uniform_work_group_size: 1
    .uses_dynamic_stack: false
    .vgpr_count:     9
    .vgpr_spill_count: 0
    .wavefront_size: 64
  - .agpr_count:     0
    .args:
      - .address_space:  global
        .offset:         0
        .size:           8
        .value_kind:     global_buffer
      - .address_space:  global
        .offset:         8
        .size:           8
        .value_kind:     global_buffer
      - .offset:         16
        .size:           4
        .value_kind:     hidden_block_count_x
      - .offset:         20
        .size:           4
        .value_kind:     hidden_block_count_y
      - .offset:         24
        .size:           4
        .value_kind:     hidden_block_count_z
      - .offset:         28
        .size:           2
        .value_kind:     hidden_group_size_x
      - .offset:         30
        .size:           2
        .value_kind:     hidden_group_size_y
      - .offset:         32
        .size:           2
        .value_kind:     hidden_group_size_z
      - .offset:         34
        .size:           2
        .value_kind:     hidden_remainder_x
      - .offset:         36
        .size:           2
        .value_kind:     hidden_remainder_y
      - .offset:         38
        .size:           2
        .value_kind:     hidden_remainder_z
      - .offset:         56
        .size:           8
        .value_kind:     hidden_global_offset_x
      - .offset:         64
        .size:           8
        .value_kind:     hidden_global_offset_y
      - .offset:         72
        .size:           8
        .value_kind:     hidden_global_offset_z
      - .offset:         80
        .size:           2
        .value_kind:     hidden_grid_dims
    .group_segment_fixed_size: 37
    .kernarg_segment_align: 8
    .kernarg_segment_size: 272
    .language:       OpenCL C
    .language_version:
      - 2
      - 0
    .max_flat_workgroup_size: 256
    .name:           _Z18warp_reduce_kernelILb1EhLj37ELj100EEvPKT0_PS0_
    .private_segment_fixed_size: 0
    .sgpr_count:     19
    .sgpr_spill_count: 0
    .symbol:         _Z18warp_reduce_kernelILb1EhLj37ELj100EEvPKT0_PS0_.kd
    .uniform_work_group_size: 1
    .uses_dynamic_stack: false
    .vgpr_count:     5
    .vgpr_spill_count: 0
    .wavefront_size: 64
  - .agpr_count:     0
    .args:
      - .address_space:  global
        .offset:         0
        .size:           8
        .value_kind:     global_buffer
      - .address_space:  global
        .offset:         8
        .size:           8
        .value_kind:     global_buffer
      - .offset:         16
        .size:           4
        .value_kind:     hidden_block_count_x
      - .offset:         20
        .size:           4
        .value_kind:     hidden_block_count_y
      - .offset:         24
        .size:           4
        .value_kind:     hidden_block_count_z
      - .offset:         28
        .size:           2
        .value_kind:     hidden_group_size_x
      - .offset:         30
        .size:           2
        .value_kind:     hidden_group_size_y
      - .offset:         32
        .size:           2
        .value_kind:     hidden_group_size_z
      - .offset:         34
        .size:           2
        .value_kind:     hidden_remainder_x
      - .offset:         36
        .size:           2
        .value_kind:     hidden_remainder_y
      - .offset:         38
        .size:           2
        .value_kind:     hidden_remainder_z
      - .offset:         56
        .size:           8
        .value_kind:     hidden_global_offset_x
      - .offset:         64
        .size:           8
        .value_kind:     hidden_global_offset_y
      - .offset:         72
        .size:           8
        .value_kind:     hidden_global_offset_z
      - .offset:         80
        .size:           2
        .value_kind:     hidden_grid_dims
    .group_segment_fixed_size: 61
    .kernarg_segment_align: 8
    .kernarg_segment_size: 272
    .language:       OpenCL C
    .language_version:
      - 2
      - 0
    .max_flat_workgroup_size: 256
    .name:           _Z18warp_reduce_kernelILb1EhLj61ELj100EEvPKT0_PS0_
    .private_segment_fixed_size: 0
    .sgpr_count:     19
    .sgpr_spill_count: 0
    .symbol:         _Z18warp_reduce_kernelILb1EhLj61ELj100EEvPKT0_PS0_.kd
    .uniform_work_group_size: 1
    .uses_dynamic_stack: false
    .vgpr_count:     5
    .vgpr_spill_count: 0
    .wavefront_size: 64
  - .agpr_count:     0
    .args:
      - .address_space:  global
        .offset:         0
        .size:           8
        .value_kind:     global_buffer
      - .address_space:  global
        .offset:         8
        .size:           8
        .value_kind:     global_buffer
      - .offset:         16
        .size:           4
        .value_kind:     hidden_block_count_x
      - .offset:         20
        .size:           4
        .value_kind:     hidden_block_count_y
      - .offset:         24
        .size:           4
        .value_kind:     hidden_block_count_z
      - .offset:         28
        .size:           2
        .value_kind:     hidden_group_size_x
      - .offset:         30
        .size:           2
        .value_kind:     hidden_group_size_y
      - .offset:         32
        .size:           2
        .value_kind:     hidden_group_size_z
      - .offset:         34
        .size:           2
        .value_kind:     hidden_remainder_x
      - .offset:         36
        .size:           2
        .value_kind:     hidden_remainder_y
      - .offset:         38
        .size:           2
        .value_kind:     hidden_remainder_z
      - .offset:         56
        .size:           8
        .value_kind:     hidden_global_offset_x
      - .offset:         64
        .size:           8
        .value_kind:     hidden_global_offset_y
      - .offset:         72
        .size:           8
        .value_kind:     hidden_global_offset_z
      - .offset:         80
        .size:           2
        .value_kind:     hidden_grid_dims
    .group_segment_fixed_size: 0
    .kernarg_segment_align: 8
    .kernarg_segment_size: 272
    .language:       OpenCL C
    .language_version:
      - 2
      - 0
    .max_flat_workgroup_size: 256
    .name:           _Z18warp_reduce_kernelILb1EhLj64ELj100EEvPKT0_PS0_
    .private_segment_fixed_size: 0
    .sgpr_count:     12
    .sgpr_spill_count: 0
    .symbol:         _Z18warp_reduce_kernelILb1EhLj64ELj100EEvPKT0_PS0_.kd
    .uniform_work_group_size: 1
    .uses_dynamic_stack: false
    .vgpr_count:     4
    .vgpr_spill_count: 0
    .wavefront_size: 64
  - .agpr_count:     0
    .args:
      - .address_space:  global
        .offset:         0
        .size:           8
        .value_kind:     global_buffer
      - .address_space:  global
        .offset:         8
        .size:           8
        .value_kind:     global_buffer
      - .offset:         16
        .size:           4
        .value_kind:     hidden_block_count_x
      - .offset:         20
        .size:           4
        .value_kind:     hidden_block_count_y
      - .offset:         24
        .size:           4
        .value_kind:     hidden_block_count_z
      - .offset:         28
        .size:           2
        .value_kind:     hidden_group_size_x
      - .offset:         30
        .size:           2
        .value_kind:     hidden_group_size_y
      - .offset:         32
        .size:           2
        .value_kind:     hidden_group_size_z
      - .offset:         34
        .size:           2
        .value_kind:     hidden_remainder_x
      - .offset:         36
        .size:           2
        .value_kind:     hidden_remainder_y
      - .offset:         38
        .size:           2
        .value_kind:     hidden_remainder_z
      - .offset:         56
        .size:           8
        .value_kind:     hidden_global_offset_x
      - .offset:         64
        .size:           8
        .value_kind:     hidden_global_offset_y
      - .offset:         72
        .size:           8
        .value_kind:     hidden_global_offset_z
      - .offset:         80
        .size:           2
        .value_kind:     hidden_grid_dims
    .group_segment_fixed_size: 0
    .kernarg_segment_align: 8
    .kernarg_segment_size: 272
    .language:       OpenCL C
    .language_version:
      - 2
      - 0
    .max_flat_workgroup_size: 256
    .name:           _Z18warp_reduce_kernelILb1E6__halfLj32ELj100EEvPKT0_PS1_
    .private_segment_fixed_size: 0
    .sgpr_count:     12
    .sgpr_spill_count: 0
    .symbol:         _Z18warp_reduce_kernelILb1E6__halfLj32ELj100EEvPKT0_PS1_.kd
    .uniform_work_group_size: 1
    .uses_dynamic_stack: false
    .vgpr_count:     10
    .vgpr_spill_count: 0
    .wavefront_size: 64
  - .agpr_count:     0
    .args:
      - .address_space:  global
        .offset:         0
        .size:           8
        .value_kind:     global_buffer
      - .address_space:  global
        .offset:         8
        .size:           8
        .value_kind:     global_buffer
      - .offset:         16
        .size:           4
        .value_kind:     hidden_block_count_x
      - .offset:         20
        .size:           4
        .value_kind:     hidden_block_count_y
      - .offset:         24
        .size:           4
        .value_kind:     hidden_block_count_z
      - .offset:         28
        .size:           2
        .value_kind:     hidden_group_size_x
      - .offset:         30
        .size:           2
        .value_kind:     hidden_group_size_y
      - .offset:         32
        .size:           2
        .value_kind:     hidden_group_size_z
      - .offset:         34
        .size:           2
        .value_kind:     hidden_remainder_x
      - .offset:         36
        .size:           2
        .value_kind:     hidden_remainder_y
      - .offset:         38
        .size:           2
        .value_kind:     hidden_remainder_z
      - .offset:         56
        .size:           8
        .value_kind:     hidden_global_offset_x
      - .offset:         64
        .size:           8
        .value_kind:     hidden_global_offset_y
      - .offset:         72
        .size:           8
        .value_kind:     hidden_global_offset_z
      - .offset:         80
        .size:           2
        .value_kind:     hidden_grid_dims
    .group_segment_fixed_size: 74
    .kernarg_segment_align: 8
    .kernarg_segment_size: 272
    .language:       OpenCL C
    .language_version:
      - 2
      - 0
    .max_flat_workgroup_size: 256
    .name:           _Z18warp_reduce_kernelILb1E6__halfLj37ELj100EEvPKT0_PS1_
    .private_segment_fixed_size: 0
    .sgpr_count:     19
    .sgpr_spill_count: 0
    .symbol:         _Z18warp_reduce_kernelILb1E6__halfLj37ELj100EEvPKT0_PS1_.kd
    .uniform_work_group_size: 1
    .uses_dynamic_stack: false
    .vgpr_count:     6
    .vgpr_spill_count: 0
    .wavefront_size: 64
  - .agpr_count:     0
    .args:
      - .address_space:  global
        .offset:         0
        .size:           8
        .value_kind:     global_buffer
      - .address_space:  global
        .offset:         8
        .size:           8
        .value_kind:     global_buffer
      - .offset:         16
        .size:           4
        .value_kind:     hidden_block_count_x
      - .offset:         20
        .size:           4
        .value_kind:     hidden_block_count_y
      - .offset:         24
        .size:           4
        .value_kind:     hidden_block_count_z
      - .offset:         28
        .size:           2
        .value_kind:     hidden_group_size_x
      - .offset:         30
        .size:           2
        .value_kind:     hidden_group_size_y
      - .offset:         32
        .size:           2
        .value_kind:     hidden_group_size_z
      - .offset:         34
        .size:           2
        .value_kind:     hidden_remainder_x
      - .offset:         36
        .size:           2
        .value_kind:     hidden_remainder_y
      - .offset:         38
        .size:           2
        .value_kind:     hidden_remainder_z
      - .offset:         56
        .size:           8
        .value_kind:     hidden_global_offset_x
      - .offset:         64
        .size:           8
        .value_kind:     hidden_global_offset_y
      - .offset:         72
        .size:           8
        .value_kind:     hidden_global_offset_z
      - .offset:         80
        .size:           2
        .value_kind:     hidden_grid_dims
    .group_segment_fixed_size: 122
    .kernarg_segment_align: 8
    .kernarg_segment_size: 272
    .language:       OpenCL C
    .language_version:
      - 2
      - 0
    .max_flat_workgroup_size: 256
    .name:           _Z18warp_reduce_kernelILb1E6__halfLj61ELj100EEvPKT0_PS1_
    .private_segment_fixed_size: 0
    .sgpr_count:     19
    .sgpr_spill_count: 0
    .symbol:         _Z18warp_reduce_kernelILb1E6__halfLj61ELj100EEvPKT0_PS1_.kd
    .uniform_work_group_size: 1
    .uses_dynamic_stack: false
    .vgpr_count:     6
    .vgpr_spill_count: 0
    .wavefront_size: 64
  - .agpr_count:     0
    .args:
      - .address_space:  global
        .offset:         0
        .size:           8
        .value_kind:     global_buffer
      - .address_space:  global
        .offset:         8
        .size:           8
        .value_kind:     global_buffer
      - .offset:         16
        .size:           4
        .value_kind:     hidden_block_count_x
      - .offset:         20
        .size:           4
        .value_kind:     hidden_block_count_y
      - .offset:         24
        .size:           4
        .value_kind:     hidden_block_count_z
      - .offset:         28
        .size:           2
        .value_kind:     hidden_group_size_x
      - .offset:         30
        .size:           2
        .value_kind:     hidden_group_size_y
      - .offset:         32
        .size:           2
        .value_kind:     hidden_group_size_z
      - .offset:         34
        .size:           2
        .value_kind:     hidden_remainder_x
      - .offset:         36
        .size:           2
        .value_kind:     hidden_remainder_y
      - .offset:         38
        .size:           2
        .value_kind:     hidden_remainder_z
      - .offset:         56
        .size:           8
        .value_kind:     hidden_global_offset_x
      - .offset:         64
        .size:           8
        .value_kind:     hidden_global_offset_y
      - .offset:         72
        .size:           8
        .value_kind:     hidden_global_offset_z
      - .offset:         80
        .size:           2
        .value_kind:     hidden_grid_dims
    .group_segment_fixed_size: 0
    .kernarg_segment_align: 8
    .kernarg_segment_size: 272
    .language:       OpenCL C
    .language_version:
      - 2
      - 0
    .max_flat_workgroup_size: 256
    .name:           _Z18warp_reduce_kernelILb1E6__halfLj64ELj100EEvPKT0_PS1_
    .private_segment_fixed_size: 0
    .sgpr_count:     12
    .sgpr_spill_count: 0
    .symbol:         _Z18warp_reduce_kernelILb1E6__halfLj64ELj100EEvPKT0_PS1_.kd
    .uniform_work_group_size: 1
    .uses_dynamic_stack: false
    .vgpr_count:     5
    .vgpr_spill_count: 0
    .wavefront_size: 64
  - .agpr_count:     0
    .args:
      - .address_space:  global
        .offset:         0
        .size:           8
        .value_kind:     global_buffer
      - .address_space:  global
        .offset:         8
        .size:           8
        .value_kind:     global_buffer
      - .offset:         16
        .size:           4
        .value_kind:     hidden_block_count_x
      - .offset:         20
        .size:           4
        .value_kind:     hidden_block_count_y
      - .offset:         24
        .size:           4
        .value_kind:     hidden_block_count_z
      - .offset:         28
        .size:           2
        .value_kind:     hidden_group_size_x
      - .offset:         30
        .size:           2
        .value_kind:     hidden_group_size_y
      - .offset:         32
        .size:           2
        .value_kind:     hidden_group_size_z
      - .offset:         34
        .size:           2
        .value_kind:     hidden_remainder_x
      - .offset:         36
        .size:           2
        .value_kind:     hidden_remainder_y
      - .offset:         38
        .size:           2
        .value_kind:     hidden_remainder_z
      - .offset:         56
        .size:           8
        .value_kind:     hidden_global_offset_x
      - .offset:         64
        .size:           8
        .value_kind:     hidden_global_offset_y
      - .offset:         72
        .size:           8
        .value_kind:     hidden_global_offset_z
      - .offset:         80
        .size:           2
        .value_kind:     hidden_grid_dims
    .group_segment_fixed_size: 0
    .kernarg_segment_align: 8
    .kernarg_segment_size: 272
    .language:       OpenCL C
    .language_version:
      - 2
      - 0
    .max_flat_workgroup_size: 256
    .name:           _Z18warp_reduce_kernelILb1EnLj32ELj100EEvPKT0_PS0_
    .private_segment_fixed_size: 0
    .sgpr_count:     12
    .sgpr_spill_count: 0
    .symbol:         _Z18warp_reduce_kernelILb1EnLj32ELj100EEvPKT0_PS0_.kd
    .uniform_work_group_size: 1
    .uses_dynamic_stack: false
    .vgpr_count:     16
    .vgpr_spill_count: 0
    .wavefront_size: 64
  - .agpr_count:     0
    .args:
      - .address_space:  global
        .offset:         0
        .size:           8
        .value_kind:     global_buffer
      - .address_space:  global
        .offset:         8
        .size:           8
        .value_kind:     global_buffer
      - .offset:         16
        .size:           4
        .value_kind:     hidden_block_count_x
      - .offset:         20
        .size:           4
        .value_kind:     hidden_block_count_y
      - .offset:         24
        .size:           4
        .value_kind:     hidden_block_count_z
      - .offset:         28
        .size:           2
        .value_kind:     hidden_group_size_x
      - .offset:         30
        .size:           2
        .value_kind:     hidden_group_size_y
      - .offset:         32
        .size:           2
        .value_kind:     hidden_group_size_z
      - .offset:         34
        .size:           2
        .value_kind:     hidden_remainder_x
      - .offset:         36
        .size:           2
        .value_kind:     hidden_remainder_y
      - .offset:         38
        .size:           2
        .value_kind:     hidden_remainder_z
      - .offset:         56
        .size:           8
        .value_kind:     hidden_global_offset_x
      - .offset:         64
        .size:           8
        .value_kind:     hidden_global_offset_y
      - .offset:         72
        .size:           8
        .value_kind:     hidden_global_offset_z
      - .offset:         80
        .size:           2
        .value_kind:     hidden_grid_dims
    .group_segment_fixed_size: 592
    .kernarg_segment_align: 8
    .kernarg_segment_size: 272
    .language:       OpenCL C
    .language_version:
      - 2
      - 0
    .max_flat_workgroup_size: 256
    .name:           _Z18warp_reduce_kernelILb1EnLj37ELj100EEvPKT0_PS0_
    .private_segment_fixed_size: 0
    .sgpr_count:     21
    .sgpr_spill_count: 0
    .symbol:         _Z18warp_reduce_kernelILb1EnLj37ELj100EEvPKT0_PS0_.kd
    .uniform_work_group_size: 1
    .uses_dynamic_stack: false
    .vgpr_count:     12
    .vgpr_spill_count: 0
    .wavefront_size: 64
  - .agpr_count:     0
    .args:
      - .address_space:  global
        .offset:         0
        .size:           8
        .value_kind:     global_buffer
      - .address_space:  global
        .offset:         8
        .size:           8
        .value_kind:     global_buffer
      - .offset:         16
        .size:           4
        .value_kind:     hidden_block_count_x
      - .offset:         20
        .size:           4
        .value_kind:     hidden_block_count_y
      - .offset:         24
        .size:           4
        .value_kind:     hidden_block_count_z
      - .offset:         28
        .size:           2
        .value_kind:     hidden_group_size_x
      - .offset:         30
        .size:           2
        .value_kind:     hidden_group_size_y
      - .offset:         32
        .size:           2
        .value_kind:     hidden_group_size_z
      - .offset:         34
        .size:           2
        .value_kind:     hidden_remainder_x
      - .offset:         36
        .size:           2
        .value_kind:     hidden_remainder_y
      - .offset:         38
        .size:           2
        .value_kind:     hidden_remainder_z
      - .offset:         56
        .size:           8
        .value_kind:     hidden_global_offset_x
      - .offset:         64
        .size:           8
        .value_kind:     hidden_global_offset_y
      - .offset:         72
        .size:           8
        .value_kind:     hidden_global_offset_z
      - .offset:         80
        .size:           2
        .value_kind:     hidden_grid_dims
    .group_segment_fixed_size: 976
    .kernarg_segment_align: 8
    .kernarg_segment_size: 272
    .language:       OpenCL C
    .language_version:
      - 2
      - 0
    .max_flat_workgroup_size: 256
    .name:           _Z18warp_reduce_kernelILb1EnLj61ELj100EEvPKT0_PS0_
    .private_segment_fixed_size: 0
    .sgpr_count:     21
    .sgpr_spill_count: 0
    .symbol:         _Z18warp_reduce_kernelILb1EnLj61ELj100EEvPKT0_PS0_.kd
    .uniform_work_group_size: 1
    .uses_dynamic_stack: false
    .vgpr_count:     12
    .vgpr_spill_count: 0
    .wavefront_size: 64
  - .agpr_count:     0
    .args:
      - .address_space:  global
        .offset:         0
        .size:           8
        .value_kind:     global_buffer
      - .address_space:  global
        .offset:         8
        .size:           8
        .value_kind:     global_buffer
      - .offset:         16
        .size:           4
        .value_kind:     hidden_block_count_x
      - .offset:         20
        .size:           4
        .value_kind:     hidden_block_count_y
      - .offset:         24
        .size:           4
        .value_kind:     hidden_block_count_z
      - .offset:         28
        .size:           2
        .value_kind:     hidden_group_size_x
      - .offset:         30
        .size:           2
        .value_kind:     hidden_group_size_y
      - .offset:         32
        .size:           2
        .value_kind:     hidden_group_size_z
      - .offset:         34
        .size:           2
        .value_kind:     hidden_remainder_x
      - .offset:         36
        .size:           2
        .value_kind:     hidden_remainder_y
      - .offset:         38
        .size:           2
        .value_kind:     hidden_remainder_z
      - .offset:         56
        .size:           8
        .value_kind:     hidden_global_offset_x
      - .offset:         64
        .size:           8
        .value_kind:     hidden_global_offset_y
      - .offset:         72
        .size:           8
        .value_kind:     hidden_global_offset_z
      - .offset:         80
        .size:           2
        .value_kind:     hidden_grid_dims
    .group_segment_fixed_size: 0
    .kernarg_segment_align: 8
    .kernarg_segment_size: 272
    .language:       OpenCL C
    .language_version:
      - 2
      - 0
    .max_flat_workgroup_size: 256
    .name:           _Z18warp_reduce_kernelILb1EnLj64ELj100EEvPKT0_PS0_
    .private_segment_fixed_size: 0
    .sgpr_count:     12
    .sgpr_spill_count: 0
    .symbol:         _Z18warp_reduce_kernelILb1EnLj64ELj100EEvPKT0_PS0_.kd
    .uniform_work_group_size: 1
    .uses_dynamic_stack: false
    .vgpr_count:     11
    .vgpr_spill_count: 0
    .wavefront_size: 64
  - .agpr_count:     0
    .args:
      - .address_space:  global
        .offset:         0
        .size:           8
        .value_kind:     global_buffer
      - .address_space:  global
        .offset:         8
        .size:           8
        .value_kind:     global_buffer
      - .offset:         16
        .size:           4
        .value_kind:     hidden_block_count_x
      - .offset:         20
        .size:           4
        .value_kind:     hidden_block_count_y
      - .offset:         24
        .size:           4
        .value_kind:     hidden_block_count_z
      - .offset:         28
        .size:           2
        .value_kind:     hidden_group_size_x
      - .offset:         30
        .size:           2
        .value_kind:     hidden_group_size_y
      - .offset:         32
        .size:           2
        .value_kind:     hidden_group_size_z
      - .offset:         34
        .size:           2
        .value_kind:     hidden_remainder_x
      - .offset:         36
        .size:           2
        .value_kind:     hidden_remainder_y
      - .offset:         38
        .size:           2
        .value_kind:     hidden_remainder_z
      - .offset:         56
        .size:           8
        .value_kind:     hidden_global_offset_x
      - .offset:         64
        .size:           8
        .value_kind:     hidden_global_offset_y
      - .offset:         72
        .size:           8
        .value_kind:     hidden_global_offset_z
      - .offset:         80
        .size:           2
        .value_kind:     hidden_grid_dims
    .group_segment_fixed_size: 0
    .kernarg_segment_align: 8
    .kernarg_segment_size: 272
    .language:       OpenCL C
    .language_version:
      - 2
      - 0
    .max_flat_workgroup_size: 256
    .name:           _Z18warp_reduce_kernelILb1EoLj32ELj100EEvPKT0_PS0_
    .private_segment_fixed_size: 0
    .sgpr_count:     12
    .sgpr_spill_count: 0
    .symbol:         _Z18warp_reduce_kernelILb1EoLj32ELj100EEvPKT0_PS0_.kd
    .uniform_work_group_size: 1
    .uses_dynamic_stack: false
    .vgpr_count:     16
    .vgpr_spill_count: 0
    .wavefront_size: 64
  - .agpr_count:     0
    .args:
      - .address_space:  global
        .offset:         0
        .size:           8
        .value_kind:     global_buffer
      - .address_space:  global
        .offset:         8
        .size:           8
        .value_kind:     global_buffer
      - .offset:         16
        .size:           4
        .value_kind:     hidden_block_count_x
      - .offset:         20
        .size:           4
        .value_kind:     hidden_block_count_y
      - .offset:         24
        .size:           4
        .value_kind:     hidden_block_count_z
      - .offset:         28
        .size:           2
        .value_kind:     hidden_group_size_x
      - .offset:         30
        .size:           2
        .value_kind:     hidden_group_size_y
      - .offset:         32
        .size:           2
        .value_kind:     hidden_group_size_z
      - .offset:         34
        .size:           2
        .value_kind:     hidden_remainder_x
      - .offset:         36
        .size:           2
        .value_kind:     hidden_remainder_y
      - .offset:         38
        .size:           2
        .value_kind:     hidden_remainder_z
      - .offset:         56
        .size:           8
        .value_kind:     hidden_global_offset_x
      - .offset:         64
        .size:           8
        .value_kind:     hidden_global_offset_y
      - .offset:         72
        .size:           8
        .value_kind:     hidden_global_offset_z
      - .offset:         80
        .size:           2
        .value_kind:     hidden_grid_dims
    .group_segment_fixed_size: 592
    .kernarg_segment_align: 8
    .kernarg_segment_size: 272
    .language:       OpenCL C
    .language_version:
      - 2
      - 0
    .max_flat_workgroup_size: 256
    .name:           _Z18warp_reduce_kernelILb1EoLj37ELj100EEvPKT0_PS0_
    .private_segment_fixed_size: 0
    .sgpr_count:     21
    .sgpr_spill_count: 0
    .symbol:         _Z18warp_reduce_kernelILb1EoLj37ELj100EEvPKT0_PS0_.kd
    .uniform_work_group_size: 1
    .uses_dynamic_stack: false
    .vgpr_count:     12
    .vgpr_spill_count: 0
    .wavefront_size: 64
  - .agpr_count:     0
    .args:
      - .address_space:  global
        .offset:         0
        .size:           8
        .value_kind:     global_buffer
      - .address_space:  global
        .offset:         8
        .size:           8
        .value_kind:     global_buffer
      - .offset:         16
        .size:           4
        .value_kind:     hidden_block_count_x
      - .offset:         20
        .size:           4
        .value_kind:     hidden_block_count_y
      - .offset:         24
        .size:           4
        .value_kind:     hidden_block_count_z
      - .offset:         28
        .size:           2
        .value_kind:     hidden_group_size_x
      - .offset:         30
        .size:           2
        .value_kind:     hidden_group_size_y
      - .offset:         32
        .size:           2
        .value_kind:     hidden_group_size_z
      - .offset:         34
        .size:           2
        .value_kind:     hidden_remainder_x
      - .offset:         36
        .size:           2
        .value_kind:     hidden_remainder_y
      - .offset:         38
        .size:           2
        .value_kind:     hidden_remainder_z
      - .offset:         56
        .size:           8
        .value_kind:     hidden_global_offset_x
      - .offset:         64
        .size:           8
        .value_kind:     hidden_global_offset_y
      - .offset:         72
        .size:           8
        .value_kind:     hidden_global_offset_z
      - .offset:         80
        .size:           2
        .value_kind:     hidden_grid_dims
    .group_segment_fixed_size: 976
    .kernarg_segment_align: 8
    .kernarg_segment_size: 272
    .language:       OpenCL C
    .language_version:
      - 2
      - 0
    .max_flat_workgroup_size: 256
    .name:           _Z18warp_reduce_kernelILb1EoLj61ELj100EEvPKT0_PS0_
    .private_segment_fixed_size: 0
    .sgpr_count:     21
    .sgpr_spill_count: 0
    .symbol:         _Z18warp_reduce_kernelILb1EoLj61ELj100EEvPKT0_PS0_.kd
    .uniform_work_group_size: 1
    .uses_dynamic_stack: false
    .vgpr_count:     12
    .vgpr_spill_count: 0
    .wavefront_size: 64
  - .agpr_count:     0
    .args:
      - .address_space:  global
        .offset:         0
        .size:           8
        .value_kind:     global_buffer
      - .address_space:  global
        .offset:         8
        .size:           8
        .value_kind:     global_buffer
      - .offset:         16
        .size:           4
        .value_kind:     hidden_block_count_x
      - .offset:         20
        .size:           4
        .value_kind:     hidden_block_count_y
      - .offset:         24
        .size:           4
        .value_kind:     hidden_block_count_z
      - .offset:         28
        .size:           2
        .value_kind:     hidden_group_size_x
      - .offset:         30
        .size:           2
        .value_kind:     hidden_group_size_y
      - .offset:         32
        .size:           2
        .value_kind:     hidden_group_size_z
      - .offset:         34
        .size:           2
        .value_kind:     hidden_remainder_x
      - .offset:         36
        .size:           2
        .value_kind:     hidden_remainder_y
      - .offset:         38
        .size:           2
        .value_kind:     hidden_remainder_z
      - .offset:         56
        .size:           8
        .value_kind:     hidden_global_offset_x
      - .offset:         64
        .size:           8
        .value_kind:     hidden_global_offset_y
      - .offset:         72
        .size:           8
        .value_kind:     hidden_global_offset_z
      - .offset:         80
        .size:           2
        .value_kind:     hidden_grid_dims
    .group_segment_fixed_size: 0
    .kernarg_segment_align: 8
    .kernarg_segment_size: 272
    .language:       OpenCL C
    .language_version:
      - 2
      - 0
    .max_flat_workgroup_size: 256
    .name:           _Z18warp_reduce_kernelILb1EoLj64ELj100EEvPKT0_PS0_
    .private_segment_fixed_size: 0
    .sgpr_count:     12
    .sgpr_spill_count: 0
    .symbol:         _Z18warp_reduce_kernelILb1EoLj64ELj100EEvPKT0_PS0_.kd
    .uniform_work_group_size: 1
    .uses_dynamic_stack: false
    .vgpr_count:     11
    .vgpr_spill_count: 0
    .wavefront_size: 64
  - .agpr_count:     0
    .args:
      - .address_space:  global
        .offset:         0
        .size:           8
        .value_kind:     global_buffer
      - .address_space:  global
        .offset:         8
        .size:           8
        .value_kind:     global_buffer
      - .address_space:  global
        .offset:         16
        .size:           8
        .value_kind:     global_buffer
      - .offset:         24
        .size:           4
        .value_kind:     hidden_block_count_x
      - .offset:         28
        .size:           4
        .value_kind:     hidden_block_count_y
      - .offset:         32
        .size:           4
        .value_kind:     hidden_block_count_z
      - .offset:         36
        .size:           2
        .value_kind:     hidden_group_size_x
      - .offset:         38
        .size:           2
        .value_kind:     hidden_group_size_y
      - .offset:         40
        .size:           2
        .value_kind:     hidden_group_size_z
      - .offset:         42
        .size:           2
        .value_kind:     hidden_remainder_x
      - .offset:         44
        .size:           2
        .value_kind:     hidden_remainder_y
      - .offset:         46
        .size:           2
        .value_kind:     hidden_remainder_z
      - .offset:         64
        .size:           8
        .value_kind:     hidden_global_offset_x
      - .offset:         72
        .size:           8
        .value_kind:     hidden_global_offset_y
      - .offset:         80
        .size:           8
        .value_kind:     hidden_global_offset_z
      - .offset:         88
        .size:           2
        .value_kind:     hidden_grid_dims
    .group_segment_fixed_size: 0
    .kernarg_segment_align: 8
    .kernarg_segment_size: 280
    .language:       OpenCL C
    .language_version:
      - 2
      - 0
    .max_flat_workgroup_size: 256
    .name:           _Z28segmented_warp_reduce_kernelIihLj32ELj100EEvPKT_PT0_PS0_
    .private_segment_fixed_size: 0
    .sgpr_count:     15
    .sgpr_spill_count: 0
    .symbol:         _Z28segmented_warp_reduce_kernelIihLj32ELj100EEvPKT_PT0_PS0_.kd
    .uniform_work_group_size: 1
    .uses_dynamic_stack: false
    .vgpr_count:     18
    .vgpr_spill_count: 0
    .wavefront_size: 64
  - .agpr_count:     0
    .args:
      - .address_space:  global
        .offset:         0
        .size:           8
        .value_kind:     global_buffer
      - .address_space:  global
        .offset:         8
        .size:           8
        .value_kind:     global_buffer
      - .address_space:  global
        .offset:         16
        .size:           8
        .value_kind:     global_buffer
      - .offset:         24
        .size:           4
        .value_kind:     hidden_block_count_x
      - .offset:         28
        .size:           4
        .value_kind:     hidden_block_count_y
      - .offset:         32
        .size:           4
        .value_kind:     hidden_block_count_z
      - .offset:         36
        .size:           2
        .value_kind:     hidden_group_size_x
      - .offset:         38
        .size:           2
        .value_kind:     hidden_group_size_y
      - .offset:         40
        .size:           2
        .value_kind:     hidden_group_size_z
      - .offset:         42
        .size:           2
        .value_kind:     hidden_remainder_x
      - .offset:         44
        .size:           2
        .value_kind:     hidden_remainder_y
      - .offset:         46
        .size:           2
        .value_kind:     hidden_remainder_z
      - .offset:         64
        .size:           8
        .value_kind:     hidden_global_offset_x
      - .offset:         72
        .size:           8
        .value_kind:     hidden_global_offset_y
      - .offset:         80
        .size:           8
        .value_kind:     hidden_global_offset_z
      - .offset:         88
        .size:           2
        .value_kind:     hidden_grid_dims
    .group_segment_fixed_size: 148
    .kernarg_segment_align: 8
    .kernarg_segment_size: 280
    .language:       OpenCL C
    .language_version:
      - 2
      - 0
    .max_flat_workgroup_size: 256
    .name:           _Z28segmented_warp_reduce_kernelIihLj37ELj100EEvPKT_PT0_PS0_
    .private_segment_fixed_size: 0
    .sgpr_count:     16
    .sgpr_spill_count: 0
    .symbol:         _Z28segmented_warp_reduce_kernelIihLj37ELj100EEvPKT_PT0_PS0_.kd
    .uniform_work_group_size: 1
    .uses_dynamic_stack: false
    .vgpr_count:     16
    .vgpr_spill_count: 0
    .wavefront_size: 64
  - .agpr_count:     0
    .args:
      - .address_space:  global
        .offset:         0
        .size:           8
        .value_kind:     global_buffer
      - .address_space:  global
        .offset:         8
        .size:           8
        .value_kind:     global_buffer
      - .address_space:  global
        .offset:         16
        .size:           8
        .value_kind:     global_buffer
      - .offset:         24
        .size:           4
        .value_kind:     hidden_block_count_x
      - .offset:         28
        .size:           4
        .value_kind:     hidden_block_count_y
      - .offset:         32
        .size:           4
        .value_kind:     hidden_block_count_z
      - .offset:         36
        .size:           2
        .value_kind:     hidden_group_size_x
      - .offset:         38
        .size:           2
        .value_kind:     hidden_group_size_y
      - .offset:         40
        .size:           2
        .value_kind:     hidden_group_size_z
      - .offset:         42
        .size:           2
        .value_kind:     hidden_remainder_x
      - .offset:         44
        .size:           2
        .value_kind:     hidden_remainder_y
      - .offset:         46
        .size:           2
        .value_kind:     hidden_remainder_z
      - .offset:         64
        .size:           8
        .value_kind:     hidden_global_offset_x
      - .offset:         72
        .size:           8
        .value_kind:     hidden_global_offset_y
      - .offset:         80
        .size:           8
        .value_kind:     hidden_global_offset_z
      - .offset:         88
        .size:           2
        .value_kind:     hidden_grid_dims
    .group_segment_fixed_size: 244
    .kernarg_segment_align: 8
    .kernarg_segment_size: 280
    .language:       OpenCL C
    .language_version:
      - 2
      - 0
    .max_flat_workgroup_size: 256
    .name:           _Z28segmented_warp_reduce_kernelIihLj61ELj100EEvPKT_PT0_PS0_
    .private_segment_fixed_size: 0
    .sgpr_count:     16
    .sgpr_spill_count: 0
    .symbol:         _Z28segmented_warp_reduce_kernelIihLj61ELj100EEvPKT_PT0_PS0_.kd
    .uniform_work_group_size: 1
    .uses_dynamic_stack: false
    .vgpr_count:     16
    .vgpr_spill_count: 0
    .wavefront_size: 64
  - .agpr_count:     0
    .args:
      - .address_space:  global
        .offset:         0
        .size:           8
        .value_kind:     global_buffer
      - .address_space:  global
        .offset:         8
        .size:           8
        .value_kind:     global_buffer
      - .address_space:  global
        .offset:         16
        .size:           8
        .value_kind:     global_buffer
      - .offset:         24
        .size:           4
        .value_kind:     hidden_block_count_x
      - .offset:         28
        .size:           4
        .value_kind:     hidden_block_count_y
      - .offset:         32
        .size:           4
        .value_kind:     hidden_block_count_z
      - .offset:         36
        .size:           2
        .value_kind:     hidden_group_size_x
      - .offset:         38
        .size:           2
        .value_kind:     hidden_group_size_y
      - .offset:         40
        .size:           2
        .value_kind:     hidden_group_size_z
      - .offset:         42
        .size:           2
        .value_kind:     hidden_remainder_x
      - .offset:         44
        .size:           2
        .value_kind:     hidden_remainder_y
      - .offset:         46
        .size:           2
        .value_kind:     hidden_remainder_z
      - .offset:         64
        .size:           8
        .value_kind:     hidden_global_offset_x
      - .offset:         72
        .size:           8
        .value_kind:     hidden_global_offset_y
      - .offset:         80
        .size:           8
        .value_kind:     hidden_global_offset_z
      - .offset:         88
        .size:           2
        .value_kind:     hidden_grid_dims
    .group_segment_fixed_size: 0
    .kernarg_segment_align: 8
    .kernarg_segment_size: 280
    .language:       OpenCL C
    .language_version:
      - 2
      - 0
    .max_flat_workgroup_size: 256
    .name:           _Z28segmented_warp_reduce_kernelIihLj64ELj100EEvPKT_PT0_PS0_
    .private_segment_fixed_size: 0
    .sgpr_count:     17
    .sgpr_spill_count: 0
    .symbol:         _Z28segmented_warp_reduce_kernelIihLj64ELj100EEvPKT_PT0_PS0_.kd
    .uniform_work_group_size: 1
    .uses_dynamic_stack: false
    .vgpr_count:     20
    .vgpr_spill_count: 0
    .wavefront_size: 64
  - .agpr_count:     0
    .args:
      - .address_space:  global
        .offset:         0
        .size:           8
        .value_kind:     global_buffer
      - .address_space:  global
        .offset:         8
        .size:           8
        .value_kind:     global_buffer
      - .address_space:  global
        .offset:         16
        .size:           8
        .value_kind:     global_buffer
      - .offset:         24
        .size:           4
        .value_kind:     hidden_block_count_x
      - .offset:         28
        .size:           4
        .value_kind:     hidden_block_count_y
      - .offset:         32
        .size:           4
        .value_kind:     hidden_block_count_z
      - .offset:         36
        .size:           2
        .value_kind:     hidden_group_size_x
      - .offset:         38
        .size:           2
        .value_kind:     hidden_group_size_y
      - .offset:         40
        .size:           2
        .value_kind:     hidden_group_size_z
      - .offset:         42
        .size:           2
        .value_kind:     hidden_remainder_x
      - .offset:         44
        .size:           2
        .value_kind:     hidden_remainder_y
      - .offset:         46
        .size:           2
        .value_kind:     hidden_remainder_z
      - .offset:         64
        .size:           8
        .value_kind:     hidden_global_offset_x
      - .offset:         72
        .size:           8
        .value_kind:     hidden_global_offset_y
      - .offset:         80
        .size:           8
        .value_kind:     hidden_global_offset_z
      - .offset:         88
        .size:           2
        .value_kind:     hidden_grid_dims
    .group_segment_fixed_size: 0
    .kernarg_segment_align: 8
    .kernarg_segment_size: 280
    .language:       OpenCL C
    .language_version:
      - 2
      - 0
    .max_flat_workgroup_size: 256
    .name:           _Z28segmented_warp_reduce_kernelIfhLj32ELj100EEvPKT_PT0_PS0_
    .private_segment_fixed_size: 0
    .sgpr_count:     15
    .sgpr_spill_count: 0
    .symbol:         _Z28segmented_warp_reduce_kernelIfhLj32ELj100EEvPKT_PT0_PS0_.kd
    .uniform_work_group_size: 1
    .uses_dynamic_stack: false
    .vgpr_count:     18
    .vgpr_spill_count: 0
    .wavefront_size: 64
  - .agpr_count:     0
    .args:
      - .address_space:  global
        .offset:         0
        .size:           8
        .value_kind:     global_buffer
      - .address_space:  global
        .offset:         8
        .size:           8
        .value_kind:     global_buffer
      - .address_space:  global
        .offset:         16
        .size:           8
        .value_kind:     global_buffer
      - .offset:         24
        .size:           4
        .value_kind:     hidden_block_count_x
      - .offset:         28
        .size:           4
        .value_kind:     hidden_block_count_y
      - .offset:         32
        .size:           4
        .value_kind:     hidden_block_count_z
      - .offset:         36
        .size:           2
        .value_kind:     hidden_group_size_x
      - .offset:         38
        .size:           2
        .value_kind:     hidden_group_size_y
      - .offset:         40
        .size:           2
        .value_kind:     hidden_group_size_z
      - .offset:         42
        .size:           2
        .value_kind:     hidden_remainder_x
      - .offset:         44
        .size:           2
        .value_kind:     hidden_remainder_y
      - .offset:         46
        .size:           2
        .value_kind:     hidden_remainder_z
      - .offset:         64
        .size:           8
        .value_kind:     hidden_global_offset_x
      - .offset:         72
        .size:           8
        .value_kind:     hidden_global_offset_y
      - .offset:         80
        .size:           8
        .value_kind:     hidden_global_offset_z
      - .offset:         88
        .size:           2
        .value_kind:     hidden_grid_dims
    .group_segment_fixed_size: 148
    .kernarg_segment_align: 8
    .kernarg_segment_size: 280
    .language:       OpenCL C
    .language_version:
      - 2
      - 0
    .max_flat_workgroup_size: 256
    .name:           _Z28segmented_warp_reduce_kernelIfhLj37ELj100EEvPKT_PT0_PS0_
    .private_segment_fixed_size: 0
    .sgpr_count:     16
    .sgpr_spill_count: 0
    .symbol:         _Z28segmented_warp_reduce_kernelIfhLj37ELj100EEvPKT_PT0_PS0_.kd
    .uniform_work_group_size: 1
    .uses_dynamic_stack: false
    .vgpr_count:     16
    .vgpr_spill_count: 0
    .wavefront_size: 64
  - .agpr_count:     0
    .args:
      - .address_space:  global
        .offset:         0
        .size:           8
        .value_kind:     global_buffer
      - .address_space:  global
        .offset:         8
        .size:           8
        .value_kind:     global_buffer
      - .address_space:  global
        .offset:         16
        .size:           8
        .value_kind:     global_buffer
      - .offset:         24
        .size:           4
        .value_kind:     hidden_block_count_x
      - .offset:         28
        .size:           4
        .value_kind:     hidden_block_count_y
      - .offset:         32
        .size:           4
        .value_kind:     hidden_block_count_z
      - .offset:         36
        .size:           2
        .value_kind:     hidden_group_size_x
      - .offset:         38
        .size:           2
        .value_kind:     hidden_group_size_y
      - .offset:         40
        .size:           2
        .value_kind:     hidden_group_size_z
      - .offset:         42
        .size:           2
        .value_kind:     hidden_remainder_x
      - .offset:         44
        .size:           2
        .value_kind:     hidden_remainder_y
      - .offset:         46
        .size:           2
        .value_kind:     hidden_remainder_z
      - .offset:         64
        .size:           8
        .value_kind:     hidden_global_offset_x
      - .offset:         72
        .size:           8
        .value_kind:     hidden_global_offset_y
      - .offset:         80
        .size:           8
        .value_kind:     hidden_global_offset_z
      - .offset:         88
        .size:           2
        .value_kind:     hidden_grid_dims
    .group_segment_fixed_size: 244
    .kernarg_segment_align: 8
    .kernarg_segment_size: 280
    .language:       OpenCL C
    .language_version:
      - 2
      - 0
    .max_flat_workgroup_size: 256
    .name:           _Z28segmented_warp_reduce_kernelIfhLj61ELj100EEvPKT_PT0_PS0_
    .private_segment_fixed_size: 0
    .sgpr_count:     16
    .sgpr_spill_count: 0
    .symbol:         _Z28segmented_warp_reduce_kernelIfhLj61ELj100EEvPKT_PT0_PS0_.kd
    .uniform_work_group_size: 1
    .uses_dynamic_stack: false
    .vgpr_count:     16
    .vgpr_spill_count: 0
    .wavefront_size: 64
  - .agpr_count:     0
    .args:
      - .address_space:  global
        .offset:         0
        .size:           8
        .value_kind:     global_buffer
      - .address_space:  global
        .offset:         8
        .size:           8
        .value_kind:     global_buffer
      - .address_space:  global
        .offset:         16
        .size:           8
        .value_kind:     global_buffer
      - .offset:         24
        .size:           4
        .value_kind:     hidden_block_count_x
      - .offset:         28
        .size:           4
        .value_kind:     hidden_block_count_y
      - .offset:         32
        .size:           4
        .value_kind:     hidden_block_count_z
      - .offset:         36
        .size:           2
        .value_kind:     hidden_group_size_x
      - .offset:         38
        .size:           2
        .value_kind:     hidden_group_size_y
      - .offset:         40
        .size:           2
        .value_kind:     hidden_group_size_z
      - .offset:         42
        .size:           2
        .value_kind:     hidden_remainder_x
      - .offset:         44
        .size:           2
        .value_kind:     hidden_remainder_y
      - .offset:         46
        .size:           2
        .value_kind:     hidden_remainder_z
      - .offset:         64
        .size:           8
        .value_kind:     hidden_global_offset_x
      - .offset:         72
        .size:           8
        .value_kind:     hidden_global_offset_y
      - .offset:         80
        .size:           8
        .value_kind:     hidden_global_offset_z
      - .offset:         88
        .size:           2
        .value_kind:     hidden_grid_dims
    .group_segment_fixed_size: 0
    .kernarg_segment_align: 8
    .kernarg_segment_size: 280
    .language:       OpenCL C
    .language_version:
      - 2
      - 0
    .max_flat_workgroup_size: 256
    .name:           _Z28segmented_warp_reduce_kernelIfhLj64ELj100EEvPKT_PT0_PS0_
    .private_segment_fixed_size: 0
    .sgpr_count:     17
    .sgpr_spill_count: 0
    .symbol:         _Z28segmented_warp_reduce_kernelIfhLj64ELj100EEvPKT_PT0_PS0_.kd
    .uniform_work_group_size: 1
    .uses_dynamic_stack: false
    .vgpr_count:     20
    .vgpr_spill_count: 0
    .wavefront_size: 64
  - .agpr_count:     0
    .args:
      - .address_space:  global
        .offset:         0
        .size:           8
        .value_kind:     global_buffer
      - .address_space:  global
        .offset:         8
        .size:           8
        .value_kind:     global_buffer
      - .address_space:  global
        .offset:         16
        .size:           8
        .value_kind:     global_buffer
      - .offset:         24
        .size:           4
        .value_kind:     hidden_block_count_x
      - .offset:         28
        .size:           4
        .value_kind:     hidden_block_count_y
      - .offset:         32
        .size:           4
        .value_kind:     hidden_block_count_z
      - .offset:         36
        .size:           2
        .value_kind:     hidden_group_size_x
      - .offset:         38
        .size:           2
        .value_kind:     hidden_group_size_y
      - .offset:         40
        .size:           2
        .value_kind:     hidden_group_size_z
      - .offset:         42
        .size:           2
        .value_kind:     hidden_remainder_x
      - .offset:         44
        .size:           2
        .value_kind:     hidden_remainder_y
      - .offset:         46
        .size:           2
        .value_kind:     hidden_remainder_z
      - .offset:         64
        .size:           8
        .value_kind:     hidden_global_offset_x
      - .offset:         72
        .size:           8
        .value_kind:     hidden_global_offset_y
      - .offset:         80
        .size:           8
        .value_kind:     hidden_global_offset_z
      - .offset:         88
        .size:           2
        .value_kind:     hidden_grid_dims
    .group_segment_fixed_size: 0
    .kernarg_segment_align: 8
    .kernarg_segment_size: 280
    .language:       OpenCL C
    .language_version:
      - 2
      - 0
    .max_flat_workgroup_size: 256
    .name:           _Z28segmented_warp_reduce_kernelIdhLj32ELj100EEvPKT_PT0_PS0_
    .private_segment_fixed_size: 0
    .sgpr_count:     15
    .sgpr_spill_count: 0
    .symbol:         _Z28segmented_warp_reduce_kernelIdhLj32ELj100EEvPKT_PT0_PS0_.kd
    .uniform_work_group_size: 1
    .uses_dynamic_stack: false
    .vgpr_count:     19
    .vgpr_spill_count: 0
    .wavefront_size: 64
  - .agpr_count:     0
    .args:
      - .address_space:  global
        .offset:         0
        .size:           8
        .value_kind:     global_buffer
      - .address_space:  global
        .offset:         8
        .size:           8
        .value_kind:     global_buffer
      - .address_space:  global
        .offset:         16
        .size:           8
        .value_kind:     global_buffer
      - .offset:         24
        .size:           4
        .value_kind:     hidden_block_count_x
      - .offset:         28
        .size:           4
        .value_kind:     hidden_block_count_y
      - .offset:         32
        .size:           4
        .value_kind:     hidden_block_count_z
      - .offset:         36
        .size:           2
        .value_kind:     hidden_group_size_x
      - .offset:         38
        .size:           2
        .value_kind:     hidden_group_size_y
      - .offset:         40
        .size:           2
        .value_kind:     hidden_group_size_z
      - .offset:         42
        .size:           2
        .value_kind:     hidden_remainder_x
      - .offset:         44
        .size:           2
        .value_kind:     hidden_remainder_y
      - .offset:         46
        .size:           2
        .value_kind:     hidden_remainder_z
      - .offset:         64
        .size:           8
        .value_kind:     hidden_global_offset_x
      - .offset:         72
        .size:           8
        .value_kind:     hidden_global_offset_y
      - .offset:         80
        .size:           8
        .value_kind:     hidden_global_offset_z
      - .offset:         88
        .size:           2
        .value_kind:     hidden_grid_dims
    .group_segment_fixed_size: 296
    .kernarg_segment_align: 8
    .kernarg_segment_size: 280
    .language:       OpenCL C
    .language_version:
      - 2
      - 0
    .max_flat_workgroup_size: 256
    .name:           _Z28segmented_warp_reduce_kernelIdhLj37ELj100EEvPKT_PT0_PS0_
    .private_segment_fixed_size: 0
    .sgpr_count:     16
    .sgpr_spill_count: 0
    .symbol:         _Z28segmented_warp_reduce_kernelIdhLj37ELj100EEvPKT_PT0_PS0_.kd
    .uniform_work_group_size: 1
    .uses_dynamic_stack: false
    .vgpr_count:     18
    .vgpr_spill_count: 0
    .wavefront_size: 64
  - .agpr_count:     0
    .args:
      - .address_space:  global
        .offset:         0
        .size:           8
        .value_kind:     global_buffer
      - .address_space:  global
        .offset:         8
        .size:           8
        .value_kind:     global_buffer
      - .address_space:  global
        .offset:         16
        .size:           8
        .value_kind:     global_buffer
      - .offset:         24
        .size:           4
        .value_kind:     hidden_block_count_x
      - .offset:         28
        .size:           4
        .value_kind:     hidden_block_count_y
      - .offset:         32
        .size:           4
        .value_kind:     hidden_block_count_z
      - .offset:         36
        .size:           2
        .value_kind:     hidden_group_size_x
      - .offset:         38
        .size:           2
        .value_kind:     hidden_group_size_y
      - .offset:         40
        .size:           2
        .value_kind:     hidden_group_size_z
      - .offset:         42
        .size:           2
        .value_kind:     hidden_remainder_x
      - .offset:         44
        .size:           2
        .value_kind:     hidden_remainder_y
      - .offset:         46
        .size:           2
        .value_kind:     hidden_remainder_z
      - .offset:         64
        .size:           8
        .value_kind:     hidden_global_offset_x
      - .offset:         72
        .size:           8
        .value_kind:     hidden_global_offset_y
      - .offset:         80
        .size:           8
        .value_kind:     hidden_global_offset_z
      - .offset:         88
        .size:           2
        .value_kind:     hidden_grid_dims
    .group_segment_fixed_size: 488
    .kernarg_segment_align: 8
    .kernarg_segment_size: 280
    .language:       OpenCL C
    .language_version:
      - 2
      - 0
    .max_flat_workgroup_size: 256
    .name:           _Z28segmented_warp_reduce_kernelIdhLj61ELj100EEvPKT_PT0_PS0_
    .private_segment_fixed_size: 0
    .sgpr_count:     16
    .sgpr_spill_count: 0
    .symbol:         _Z28segmented_warp_reduce_kernelIdhLj61ELj100EEvPKT_PT0_PS0_.kd
    .uniform_work_group_size: 1
    .uses_dynamic_stack: false
    .vgpr_count:     18
    .vgpr_spill_count: 0
    .wavefront_size: 64
  - .agpr_count:     0
    .args:
      - .address_space:  global
        .offset:         0
        .size:           8
        .value_kind:     global_buffer
      - .address_space:  global
        .offset:         8
        .size:           8
        .value_kind:     global_buffer
      - .address_space:  global
        .offset:         16
        .size:           8
        .value_kind:     global_buffer
      - .offset:         24
        .size:           4
        .value_kind:     hidden_block_count_x
      - .offset:         28
        .size:           4
        .value_kind:     hidden_block_count_y
      - .offset:         32
        .size:           4
        .value_kind:     hidden_block_count_z
      - .offset:         36
        .size:           2
        .value_kind:     hidden_group_size_x
      - .offset:         38
        .size:           2
        .value_kind:     hidden_group_size_y
      - .offset:         40
        .size:           2
        .value_kind:     hidden_group_size_z
      - .offset:         42
        .size:           2
        .value_kind:     hidden_remainder_x
      - .offset:         44
        .size:           2
        .value_kind:     hidden_remainder_y
      - .offset:         46
        .size:           2
        .value_kind:     hidden_remainder_z
      - .offset:         64
        .size:           8
        .value_kind:     hidden_global_offset_x
      - .offset:         72
        .size:           8
        .value_kind:     hidden_global_offset_y
      - .offset:         80
        .size:           8
        .value_kind:     hidden_global_offset_z
      - .offset:         88
        .size:           2
        .value_kind:     hidden_grid_dims
    .group_segment_fixed_size: 0
    .kernarg_segment_align: 8
    .kernarg_segment_size: 280
    .language:       OpenCL C
    .language_version:
      - 2
      - 0
    .max_flat_workgroup_size: 256
    .name:           _Z28segmented_warp_reduce_kernelIdhLj64ELj100EEvPKT_PT0_PS0_
    .private_segment_fixed_size: 0
    .sgpr_count:     17
    .sgpr_spill_count: 0
    .symbol:         _Z28segmented_warp_reduce_kernelIdhLj64ELj100EEvPKT_PT0_PS0_.kd
    .uniform_work_group_size: 1
    .uses_dynamic_stack: false
    .vgpr_count:     21
    .vgpr_spill_count: 0
    .wavefront_size: 64
  - .agpr_count:     0
    .args:
      - .address_space:  global
        .offset:         0
        .size:           8
        .value_kind:     global_buffer
      - .address_space:  global
        .offset:         8
        .size:           8
        .value_kind:     global_buffer
      - .address_space:  global
        .offset:         16
        .size:           8
        .value_kind:     global_buffer
      - .offset:         24
        .size:           4
        .value_kind:     hidden_block_count_x
      - .offset:         28
        .size:           4
        .value_kind:     hidden_block_count_y
      - .offset:         32
        .size:           4
        .value_kind:     hidden_block_count_z
      - .offset:         36
        .size:           2
        .value_kind:     hidden_group_size_x
      - .offset:         38
        .size:           2
        .value_kind:     hidden_group_size_y
      - .offset:         40
        .size:           2
        .value_kind:     hidden_group_size_z
      - .offset:         42
        .size:           2
        .value_kind:     hidden_remainder_x
      - .offset:         44
        .size:           2
        .value_kind:     hidden_remainder_y
      - .offset:         46
        .size:           2
        .value_kind:     hidden_remainder_z
      - .offset:         64
        .size:           8
        .value_kind:     hidden_global_offset_x
      - .offset:         72
        .size:           8
        .value_kind:     hidden_global_offset_y
      - .offset:         80
        .size:           8
        .value_kind:     hidden_global_offset_z
      - .offset:         88
        .size:           2
        .value_kind:     hidden_grid_dims
    .group_segment_fixed_size: 0
    .kernarg_segment_align: 8
    .kernarg_segment_size: 280
    .language:       OpenCL C
    .language_version:
      - 2
      - 0
    .max_flat_workgroup_size: 256
    .name:           _Z28segmented_warp_reduce_kernelIahLj32ELj100EEvPKT_PT0_PS0_
    .private_segment_fixed_size: 0
    .sgpr_count:     15
    .sgpr_spill_count: 0
    .symbol:         _Z28segmented_warp_reduce_kernelIahLj32ELj100EEvPKT_PT0_PS0_.kd
    .uniform_work_group_size: 1
    .uses_dynamic_stack: false
    .vgpr_count:     17
    .vgpr_spill_count: 0
    .wavefront_size: 64
  - .agpr_count:     0
    .args:
      - .address_space:  global
        .offset:         0
        .size:           8
        .value_kind:     global_buffer
      - .address_space:  global
        .offset:         8
        .size:           8
        .value_kind:     global_buffer
      - .address_space:  global
        .offset:         16
        .size:           8
        .value_kind:     global_buffer
      - .offset:         24
        .size:           4
        .value_kind:     hidden_block_count_x
      - .offset:         28
        .size:           4
        .value_kind:     hidden_block_count_y
      - .offset:         32
        .size:           4
        .value_kind:     hidden_block_count_z
      - .offset:         36
        .size:           2
        .value_kind:     hidden_group_size_x
      - .offset:         38
        .size:           2
        .value_kind:     hidden_group_size_y
      - .offset:         40
        .size:           2
        .value_kind:     hidden_group_size_z
      - .offset:         42
        .size:           2
        .value_kind:     hidden_remainder_x
      - .offset:         44
        .size:           2
        .value_kind:     hidden_remainder_y
      - .offset:         46
        .size:           2
        .value_kind:     hidden_remainder_z
      - .offset:         64
        .size:           8
        .value_kind:     hidden_global_offset_x
      - .offset:         72
        .size:           8
        .value_kind:     hidden_global_offset_y
      - .offset:         80
        .size:           8
        .value_kind:     hidden_global_offset_z
      - .offset:         88
        .size:           2
        .value_kind:     hidden_grid_dims
    .group_segment_fixed_size: 37
    .kernarg_segment_align: 8
    .kernarg_segment_size: 280
    .language:       OpenCL C
    .language_version:
      - 2
      - 0
    .max_flat_workgroup_size: 256
    .name:           _Z28segmented_warp_reduce_kernelIahLj37ELj100EEvPKT_PT0_PS0_
    .private_segment_fixed_size: 0
    .sgpr_count:     16
    .sgpr_spill_count: 0
    .symbol:         _Z28segmented_warp_reduce_kernelIahLj37ELj100EEvPKT_PT0_PS0_.kd
    .uniform_work_group_size: 1
    .uses_dynamic_stack: false
    .vgpr_count:     14
    .vgpr_spill_count: 0
    .wavefront_size: 64
  - .agpr_count:     0
    .args:
      - .address_space:  global
        .offset:         0
        .size:           8
        .value_kind:     global_buffer
      - .address_space:  global
        .offset:         8
        .size:           8
        .value_kind:     global_buffer
      - .address_space:  global
        .offset:         16
        .size:           8
        .value_kind:     global_buffer
      - .offset:         24
        .size:           4
        .value_kind:     hidden_block_count_x
      - .offset:         28
        .size:           4
        .value_kind:     hidden_block_count_y
      - .offset:         32
        .size:           4
        .value_kind:     hidden_block_count_z
      - .offset:         36
        .size:           2
        .value_kind:     hidden_group_size_x
      - .offset:         38
        .size:           2
        .value_kind:     hidden_group_size_y
      - .offset:         40
        .size:           2
        .value_kind:     hidden_group_size_z
      - .offset:         42
        .size:           2
        .value_kind:     hidden_remainder_x
      - .offset:         44
        .size:           2
        .value_kind:     hidden_remainder_y
      - .offset:         46
        .size:           2
        .value_kind:     hidden_remainder_z
      - .offset:         64
        .size:           8
        .value_kind:     hidden_global_offset_x
      - .offset:         72
        .size:           8
        .value_kind:     hidden_global_offset_y
      - .offset:         80
        .size:           8
        .value_kind:     hidden_global_offset_z
      - .offset:         88
        .size:           2
        .value_kind:     hidden_grid_dims
    .group_segment_fixed_size: 61
    .kernarg_segment_align: 8
    .kernarg_segment_size: 280
    .language:       OpenCL C
    .language_version:
      - 2
      - 0
    .max_flat_workgroup_size: 256
    .name:           _Z28segmented_warp_reduce_kernelIahLj61ELj100EEvPKT_PT0_PS0_
    .private_segment_fixed_size: 0
    .sgpr_count:     16
    .sgpr_spill_count: 0
    .symbol:         _Z28segmented_warp_reduce_kernelIahLj61ELj100EEvPKT_PT0_PS0_.kd
    .uniform_work_group_size: 1
    .uses_dynamic_stack: false
    .vgpr_count:     14
    .vgpr_spill_count: 0
    .wavefront_size: 64
  - .agpr_count:     0
    .args:
      - .address_space:  global
        .offset:         0
        .size:           8
        .value_kind:     global_buffer
      - .address_space:  global
        .offset:         8
        .size:           8
        .value_kind:     global_buffer
      - .address_space:  global
        .offset:         16
        .size:           8
        .value_kind:     global_buffer
      - .offset:         24
        .size:           4
        .value_kind:     hidden_block_count_x
      - .offset:         28
        .size:           4
        .value_kind:     hidden_block_count_y
      - .offset:         32
        .size:           4
        .value_kind:     hidden_block_count_z
      - .offset:         36
        .size:           2
        .value_kind:     hidden_group_size_x
      - .offset:         38
        .size:           2
        .value_kind:     hidden_group_size_y
      - .offset:         40
        .size:           2
        .value_kind:     hidden_group_size_z
      - .offset:         42
        .size:           2
        .value_kind:     hidden_remainder_x
      - .offset:         44
        .size:           2
        .value_kind:     hidden_remainder_y
      - .offset:         46
        .size:           2
        .value_kind:     hidden_remainder_z
      - .offset:         64
        .size:           8
        .value_kind:     hidden_global_offset_x
      - .offset:         72
        .size:           8
        .value_kind:     hidden_global_offset_y
      - .offset:         80
        .size:           8
        .value_kind:     hidden_global_offset_z
      - .offset:         88
        .size:           2
        .value_kind:     hidden_grid_dims
    .group_segment_fixed_size: 0
    .kernarg_segment_align: 8
    .kernarg_segment_size: 280
    .language:       OpenCL C
    .language_version:
      - 2
      - 0
    .max_flat_workgroup_size: 256
    .name:           _Z28segmented_warp_reduce_kernelIahLj64ELj100EEvPKT_PT0_PS0_
    .private_segment_fixed_size: 0
    .sgpr_count:     19
    .sgpr_spill_count: 0
    .symbol:         _Z28segmented_warp_reduce_kernelIahLj64ELj100EEvPKT_PT0_PS0_.kd
    .uniform_work_group_size: 1
    .uses_dynamic_stack: false
    .vgpr_count:     19
    .vgpr_spill_count: 0
    .wavefront_size: 64
  - .agpr_count:     0
    .args:
      - .address_space:  global
        .offset:         0
        .size:           8
        .value_kind:     global_buffer
      - .address_space:  global
        .offset:         8
        .size:           8
        .value_kind:     global_buffer
      - .address_space:  global
        .offset:         16
        .size:           8
        .value_kind:     global_buffer
      - .offset:         24
        .size:           4
        .value_kind:     hidden_block_count_x
      - .offset:         28
        .size:           4
        .value_kind:     hidden_block_count_y
      - .offset:         32
        .size:           4
        .value_kind:     hidden_block_count_z
      - .offset:         36
        .size:           2
        .value_kind:     hidden_group_size_x
      - .offset:         38
        .size:           2
        .value_kind:     hidden_group_size_y
      - .offset:         40
        .size:           2
        .value_kind:     hidden_group_size_z
      - .offset:         42
        .size:           2
        .value_kind:     hidden_remainder_x
      - .offset:         44
        .size:           2
        .value_kind:     hidden_remainder_y
      - .offset:         46
        .size:           2
        .value_kind:     hidden_remainder_z
      - .offset:         64
        .size:           8
        .value_kind:     hidden_global_offset_x
      - .offset:         72
        .size:           8
        .value_kind:     hidden_global_offset_y
      - .offset:         80
        .size:           8
        .value_kind:     hidden_global_offset_z
      - .offset:         88
        .size:           2
        .value_kind:     hidden_grid_dims
    .group_segment_fixed_size: 0
    .kernarg_segment_align: 8
    .kernarg_segment_size: 280
    .language:       OpenCL C
    .language_version:
      - 2
      - 0
    .max_flat_workgroup_size: 256
    .name:           _Z28segmented_warp_reduce_kernelIhhLj32ELj100EEvPKT_PT0_PS0_
    .private_segment_fixed_size: 0
    .sgpr_count:     15
    .sgpr_spill_count: 0
    .symbol:         _Z28segmented_warp_reduce_kernelIhhLj32ELj100EEvPKT_PT0_PS0_.kd
    .uniform_work_group_size: 1
    .uses_dynamic_stack: false
    .vgpr_count:     17
    .vgpr_spill_count: 0
    .wavefront_size: 64
  - .agpr_count:     0
    .args:
      - .address_space:  global
        .offset:         0
        .size:           8
        .value_kind:     global_buffer
      - .address_space:  global
        .offset:         8
        .size:           8
        .value_kind:     global_buffer
      - .address_space:  global
        .offset:         16
        .size:           8
        .value_kind:     global_buffer
      - .offset:         24
        .size:           4
        .value_kind:     hidden_block_count_x
      - .offset:         28
        .size:           4
        .value_kind:     hidden_block_count_y
      - .offset:         32
        .size:           4
        .value_kind:     hidden_block_count_z
      - .offset:         36
        .size:           2
        .value_kind:     hidden_group_size_x
      - .offset:         38
        .size:           2
        .value_kind:     hidden_group_size_y
      - .offset:         40
        .size:           2
        .value_kind:     hidden_group_size_z
      - .offset:         42
        .size:           2
        .value_kind:     hidden_remainder_x
      - .offset:         44
        .size:           2
        .value_kind:     hidden_remainder_y
      - .offset:         46
        .size:           2
        .value_kind:     hidden_remainder_z
      - .offset:         64
        .size:           8
        .value_kind:     hidden_global_offset_x
      - .offset:         72
        .size:           8
        .value_kind:     hidden_global_offset_y
      - .offset:         80
        .size:           8
        .value_kind:     hidden_global_offset_z
      - .offset:         88
        .size:           2
        .value_kind:     hidden_grid_dims
    .group_segment_fixed_size: 37
    .kernarg_segment_align: 8
    .kernarg_segment_size: 280
    .language:       OpenCL C
    .language_version:
      - 2
      - 0
    .max_flat_workgroup_size: 256
    .name:           _Z28segmented_warp_reduce_kernelIhhLj37ELj100EEvPKT_PT0_PS0_
    .private_segment_fixed_size: 0
    .sgpr_count:     16
    .sgpr_spill_count: 0
    .symbol:         _Z28segmented_warp_reduce_kernelIhhLj37ELj100EEvPKT_PT0_PS0_.kd
    .uniform_work_group_size: 1
    .uses_dynamic_stack: false
    .vgpr_count:     14
    .vgpr_spill_count: 0
    .wavefront_size: 64
  - .agpr_count:     0
    .args:
      - .address_space:  global
        .offset:         0
        .size:           8
        .value_kind:     global_buffer
      - .address_space:  global
        .offset:         8
        .size:           8
        .value_kind:     global_buffer
      - .address_space:  global
        .offset:         16
        .size:           8
        .value_kind:     global_buffer
      - .offset:         24
        .size:           4
        .value_kind:     hidden_block_count_x
      - .offset:         28
        .size:           4
        .value_kind:     hidden_block_count_y
      - .offset:         32
        .size:           4
        .value_kind:     hidden_block_count_z
      - .offset:         36
        .size:           2
        .value_kind:     hidden_group_size_x
      - .offset:         38
        .size:           2
        .value_kind:     hidden_group_size_y
      - .offset:         40
        .size:           2
        .value_kind:     hidden_group_size_z
      - .offset:         42
        .size:           2
        .value_kind:     hidden_remainder_x
      - .offset:         44
        .size:           2
        .value_kind:     hidden_remainder_y
      - .offset:         46
        .size:           2
        .value_kind:     hidden_remainder_z
      - .offset:         64
        .size:           8
        .value_kind:     hidden_global_offset_x
      - .offset:         72
        .size:           8
        .value_kind:     hidden_global_offset_y
      - .offset:         80
        .size:           8
        .value_kind:     hidden_global_offset_z
      - .offset:         88
        .size:           2
        .value_kind:     hidden_grid_dims
    .group_segment_fixed_size: 61
    .kernarg_segment_align: 8
    .kernarg_segment_size: 280
    .language:       OpenCL C
    .language_version:
      - 2
      - 0
    .max_flat_workgroup_size: 256
    .name:           _Z28segmented_warp_reduce_kernelIhhLj61ELj100EEvPKT_PT0_PS0_
    .private_segment_fixed_size: 0
    .sgpr_count:     16
    .sgpr_spill_count: 0
    .symbol:         _Z28segmented_warp_reduce_kernelIhhLj61ELj100EEvPKT_PT0_PS0_.kd
    .uniform_work_group_size: 1
    .uses_dynamic_stack: false
    .vgpr_count:     14
    .vgpr_spill_count: 0
    .wavefront_size: 64
  - .agpr_count:     0
    .args:
      - .address_space:  global
        .offset:         0
        .size:           8
        .value_kind:     global_buffer
      - .address_space:  global
        .offset:         8
        .size:           8
        .value_kind:     global_buffer
      - .address_space:  global
        .offset:         16
        .size:           8
        .value_kind:     global_buffer
      - .offset:         24
        .size:           4
        .value_kind:     hidden_block_count_x
      - .offset:         28
        .size:           4
        .value_kind:     hidden_block_count_y
      - .offset:         32
        .size:           4
        .value_kind:     hidden_block_count_z
      - .offset:         36
        .size:           2
        .value_kind:     hidden_group_size_x
      - .offset:         38
        .size:           2
        .value_kind:     hidden_group_size_y
      - .offset:         40
        .size:           2
        .value_kind:     hidden_group_size_z
      - .offset:         42
        .size:           2
        .value_kind:     hidden_remainder_x
      - .offset:         44
        .size:           2
        .value_kind:     hidden_remainder_y
      - .offset:         46
        .size:           2
        .value_kind:     hidden_remainder_z
      - .offset:         64
        .size:           8
        .value_kind:     hidden_global_offset_x
      - .offset:         72
        .size:           8
        .value_kind:     hidden_global_offset_y
      - .offset:         80
        .size:           8
        .value_kind:     hidden_global_offset_z
      - .offset:         88
        .size:           2
        .value_kind:     hidden_grid_dims
    .group_segment_fixed_size: 0
    .kernarg_segment_align: 8
    .kernarg_segment_size: 280
    .language:       OpenCL C
    .language_version:
      - 2
      - 0
    .max_flat_workgroup_size: 256
    .name:           _Z28segmented_warp_reduce_kernelIhhLj64ELj100EEvPKT_PT0_PS0_
    .private_segment_fixed_size: 0
    .sgpr_count:     19
    .sgpr_spill_count: 0
    .symbol:         _Z28segmented_warp_reduce_kernelIhhLj64ELj100EEvPKT_PT0_PS0_.kd
    .uniform_work_group_size: 1
    .uses_dynamic_stack: false
    .vgpr_count:     19
    .vgpr_spill_count: 0
    .wavefront_size: 64
  - .agpr_count:     0
    .args:
      - .address_space:  global
        .offset:         0
        .size:           8
        .value_kind:     global_buffer
      - .address_space:  global
        .offset:         8
        .size:           8
        .value_kind:     global_buffer
      - .address_space:  global
        .offset:         16
        .size:           8
        .value_kind:     global_buffer
      - .offset:         24
        .size:           4
        .value_kind:     hidden_block_count_x
      - .offset:         28
        .size:           4
        .value_kind:     hidden_block_count_y
      - .offset:         32
        .size:           4
        .value_kind:     hidden_block_count_z
      - .offset:         36
        .size:           2
        .value_kind:     hidden_group_size_x
      - .offset:         38
        .size:           2
        .value_kind:     hidden_group_size_y
      - .offset:         40
        .size:           2
        .value_kind:     hidden_group_size_z
      - .offset:         42
        .size:           2
        .value_kind:     hidden_remainder_x
      - .offset:         44
        .size:           2
        .value_kind:     hidden_remainder_y
      - .offset:         46
        .size:           2
        .value_kind:     hidden_remainder_z
      - .offset:         64
        .size:           8
        .value_kind:     hidden_global_offset_x
      - .offset:         72
        .size:           8
        .value_kind:     hidden_global_offset_y
      - .offset:         80
        .size:           8
        .value_kind:     hidden_global_offset_z
      - .offset:         88
        .size:           2
        .value_kind:     hidden_grid_dims
    .group_segment_fixed_size: 0
    .kernarg_segment_align: 8
    .kernarg_segment_size: 280
    .language:       OpenCL C
    .language_version:
      - 2
      - 0
    .max_flat_workgroup_size: 256
    .name:           _Z28segmented_warp_reduce_kernelI6__halfhLj32ELj100EEvPKT_PT0_PS1_
    .private_segment_fixed_size: 0
    .sgpr_count:     15
    .sgpr_spill_count: 0
    .symbol:         _Z28segmented_warp_reduce_kernelI6__halfhLj32ELj100EEvPKT_PT0_PS1_.kd
    .uniform_work_group_size: 1
    .uses_dynamic_stack: false
    .vgpr_count:     24
    .vgpr_spill_count: 0
    .wavefront_size: 64
  - .agpr_count:     0
    .args:
      - .address_space:  global
        .offset:         0
        .size:           8
        .value_kind:     global_buffer
      - .address_space:  global
        .offset:         8
        .size:           8
        .value_kind:     global_buffer
      - .address_space:  global
        .offset:         16
        .size:           8
        .value_kind:     global_buffer
      - .offset:         24
        .size:           4
        .value_kind:     hidden_block_count_x
      - .offset:         28
        .size:           4
        .value_kind:     hidden_block_count_y
      - .offset:         32
        .size:           4
        .value_kind:     hidden_block_count_z
      - .offset:         36
        .size:           2
        .value_kind:     hidden_group_size_x
      - .offset:         38
        .size:           2
        .value_kind:     hidden_group_size_y
      - .offset:         40
        .size:           2
        .value_kind:     hidden_group_size_z
      - .offset:         42
        .size:           2
        .value_kind:     hidden_remainder_x
      - .offset:         44
        .size:           2
        .value_kind:     hidden_remainder_y
      - .offset:         46
        .size:           2
        .value_kind:     hidden_remainder_z
      - .offset:         64
        .size:           8
        .value_kind:     hidden_global_offset_x
      - .offset:         72
        .size:           8
        .value_kind:     hidden_global_offset_y
      - .offset:         80
        .size:           8
        .value_kind:     hidden_global_offset_z
      - .offset:         88
        .size:           2
        .value_kind:     hidden_grid_dims
    .group_segment_fixed_size: 74
    .kernarg_segment_align: 8
    .kernarg_segment_size: 280
    .language:       OpenCL C
    .language_version:
      - 2
      - 0
    .max_flat_workgroup_size: 256
    .name:           _Z28segmented_warp_reduce_kernelI6__halfhLj37ELj100EEvPKT_PT0_PS1_
    .private_segment_fixed_size: 0
    .sgpr_count:     16
    .sgpr_spill_count: 0
    .symbol:         _Z28segmented_warp_reduce_kernelI6__halfhLj37ELj100EEvPKT_PT0_PS1_.kd
    .uniform_work_group_size: 1
    .uses_dynamic_stack: false
    .vgpr_count:     16
    .vgpr_spill_count: 0
    .wavefront_size: 64
  - .agpr_count:     0
    .args:
      - .address_space:  global
        .offset:         0
        .size:           8
        .value_kind:     global_buffer
      - .address_space:  global
        .offset:         8
        .size:           8
        .value_kind:     global_buffer
      - .address_space:  global
        .offset:         16
        .size:           8
        .value_kind:     global_buffer
      - .offset:         24
        .size:           4
        .value_kind:     hidden_block_count_x
      - .offset:         28
        .size:           4
        .value_kind:     hidden_block_count_y
      - .offset:         32
        .size:           4
        .value_kind:     hidden_block_count_z
      - .offset:         36
        .size:           2
        .value_kind:     hidden_group_size_x
      - .offset:         38
        .size:           2
        .value_kind:     hidden_group_size_y
      - .offset:         40
        .size:           2
        .value_kind:     hidden_group_size_z
      - .offset:         42
        .size:           2
        .value_kind:     hidden_remainder_x
      - .offset:         44
        .size:           2
        .value_kind:     hidden_remainder_y
      - .offset:         46
        .size:           2
        .value_kind:     hidden_remainder_z
      - .offset:         64
        .size:           8
        .value_kind:     hidden_global_offset_x
      - .offset:         72
        .size:           8
        .value_kind:     hidden_global_offset_y
      - .offset:         80
        .size:           8
        .value_kind:     hidden_global_offset_z
      - .offset:         88
        .size:           2
        .value_kind:     hidden_grid_dims
    .group_segment_fixed_size: 122
    .kernarg_segment_align: 8
    .kernarg_segment_size: 280
    .language:       OpenCL C
    .language_version:
      - 2
      - 0
    .max_flat_workgroup_size: 256
    .name:           _Z28segmented_warp_reduce_kernelI6__halfhLj61ELj100EEvPKT_PT0_PS1_
    .private_segment_fixed_size: 0
    .sgpr_count:     16
    .sgpr_spill_count: 0
    .symbol:         _Z28segmented_warp_reduce_kernelI6__halfhLj61ELj100EEvPKT_PT0_PS1_.kd
    .uniform_work_group_size: 1
    .uses_dynamic_stack: false
    .vgpr_count:     16
    .vgpr_spill_count: 0
    .wavefront_size: 64
  - .agpr_count:     0
    .args:
      - .address_space:  global
        .offset:         0
        .size:           8
        .value_kind:     global_buffer
      - .address_space:  global
        .offset:         8
        .size:           8
        .value_kind:     global_buffer
      - .address_space:  global
        .offset:         16
        .size:           8
        .value_kind:     global_buffer
      - .offset:         24
        .size:           4
        .value_kind:     hidden_block_count_x
      - .offset:         28
        .size:           4
        .value_kind:     hidden_block_count_y
      - .offset:         32
        .size:           4
        .value_kind:     hidden_block_count_z
      - .offset:         36
        .size:           2
        .value_kind:     hidden_group_size_x
      - .offset:         38
        .size:           2
        .value_kind:     hidden_group_size_y
      - .offset:         40
        .size:           2
        .value_kind:     hidden_group_size_z
      - .offset:         42
        .size:           2
        .value_kind:     hidden_remainder_x
      - .offset:         44
        .size:           2
        .value_kind:     hidden_remainder_y
      - .offset:         46
        .size:           2
        .value_kind:     hidden_remainder_z
      - .offset:         64
        .size:           8
        .value_kind:     hidden_global_offset_x
      - .offset:         72
        .size:           8
        .value_kind:     hidden_global_offset_y
      - .offset:         80
        .size:           8
        .value_kind:     hidden_global_offset_z
      - .offset:         88
        .size:           2
        .value_kind:     hidden_grid_dims
    .group_segment_fixed_size: 0
    .kernarg_segment_align: 8
    .kernarg_segment_size: 280
    .language:       OpenCL C
    .language_version:
      - 2
      - 0
    .max_flat_workgroup_size: 256
    .name:           _Z28segmented_warp_reduce_kernelI6__halfhLj64ELj100EEvPKT_PT0_PS1_
    .private_segment_fixed_size: 0
    .sgpr_count:     20
    .sgpr_spill_count: 0
    .symbol:         _Z28segmented_warp_reduce_kernelI6__halfhLj64ELj100EEvPKT_PT0_PS1_.kd
    .uniform_work_group_size: 1
    .uses_dynamic_stack: false
    .vgpr_count:     27
    .vgpr_spill_count: 0
    .wavefront_size: 64
  - .agpr_count:     0
    .args:
      - .address_space:  global
        .offset:         0
        .size:           8
        .value_kind:     global_buffer
      - .address_space:  global
        .offset:         8
        .size:           8
        .value_kind:     global_buffer
      - .address_space:  global
        .offset:         16
        .size:           8
        .value_kind:     global_buffer
      - .offset:         24
        .size:           4
        .value_kind:     hidden_block_count_x
      - .offset:         28
        .size:           4
        .value_kind:     hidden_block_count_y
      - .offset:         32
        .size:           4
        .value_kind:     hidden_block_count_z
      - .offset:         36
        .size:           2
        .value_kind:     hidden_group_size_x
      - .offset:         38
        .size:           2
        .value_kind:     hidden_group_size_y
      - .offset:         40
        .size:           2
        .value_kind:     hidden_group_size_z
      - .offset:         42
        .size:           2
        .value_kind:     hidden_remainder_x
      - .offset:         44
        .size:           2
        .value_kind:     hidden_remainder_y
      - .offset:         46
        .size:           2
        .value_kind:     hidden_remainder_z
      - .offset:         64
        .size:           8
        .value_kind:     hidden_global_offset_x
      - .offset:         72
        .size:           8
        .value_kind:     hidden_global_offset_y
      - .offset:         80
        .size:           8
        .value_kind:     hidden_global_offset_z
      - .offset:         88
        .size:           2
        .value_kind:     hidden_grid_dims
    .group_segment_fixed_size: 0
    .kernarg_segment_align: 8
    .kernarg_segment_size: 280
    .language:       OpenCL C
    .language_version:
      - 2
      - 0
    .max_flat_workgroup_size: 256
    .name:           _Z28segmented_warp_reduce_kernelInhLj32ELj100EEvPKT_PT0_PS0_
    .private_segment_fixed_size: 0
    .sgpr_count:     16
    .sgpr_spill_count: 0
    .symbol:         _Z28segmented_warp_reduce_kernelInhLj32ELj100EEvPKT_PT0_PS0_.kd
    .uniform_work_group_size: 1
    .uses_dynamic_stack: false
    .vgpr_count:     27
    .vgpr_spill_count: 0
    .wavefront_size: 64
  - .agpr_count:     0
    .args:
      - .address_space:  global
        .offset:         0
        .size:           8
        .value_kind:     global_buffer
      - .address_space:  global
        .offset:         8
        .size:           8
        .value_kind:     global_buffer
      - .address_space:  global
        .offset:         16
        .size:           8
        .value_kind:     global_buffer
      - .offset:         24
        .size:           4
        .value_kind:     hidden_block_count_x
      - .offset:         28
        .size:           4
        .value_kind:     hidden_block_count_y
      - .offset:         32
        .size:           4
        .value_kind:     hidden_block_count_z
      - .offset:         36
        .size:           2
        .value_kind:     hidden_group_size_x
      - .offset:         38
        .size:           2
        .value_kind:     hidden_group_size_y
      - .offset:         40
        .size:           2
        .value_kind:     hidden_group_size_z
      - .offset:         42
        .size:           2
        .value_kind:     hidden_remainder_x
      - .offset:         44
        .size:           2
        .value_kind:     hidden_remainder_y
      - .offset:         46
        .size:           2
        .value_kind:     hidden_remainder_z
      - .offset:         64
        .size:           8
        .value_kind:     hidden_global_offset_x
      - .offset:         72
        .size:           8
        .value_kind:     hidden_global_offset_y
      - .offset:         80
        .size:           8
        .value_kind:     hidden_global_offset_z
      - .offset:         88
        .size:           2
        .value_kind:     hidden_grid_dims
    .group_segment_fixed_size: 592
    .kernarg_segment_align: 8
    .kernarg_segment_size: 280
    .language:       OpenCL C
    .language_version:
      - 2
      - 0
    .max_flat_workgroup_size: 256
    .name:           _Z28segmented_warp_reduce_kernelInhLj37ELj100EEvPKT_PT0_PS0_
    .private_segment_fixed_size: 0
    .sgpr_count:     16
    .sgpr_spill_count: 0
    .symbol:         _Z28segmented_warp_reduce_kernelInhLj37ELj100EEvPKT_PT0_PS0_.kd
    .uniform_work_group_size: 1
    .uses_dynamic_stack: false
    .vgpr_count:     22
    .vgpr_spill_count: 0
    .wavefront_size: 64
  - .agpr_count:     0
    .args:
      - .address_space:  global
        .offset:         0
        .size:           8
        .value_kind:     global_buffer
      - .address_space:  global
        .offset:         8
        .size:           8
        .value_kind:     global_buffer
      - .address_space:  global
        .offset:         16
        .size:           8
        .value_kind:     global_buffer
      - .offset:         24
        .size:           4
        .value_kind:     hidden_block_count_x
      - .offset:         28
        .size:           4
        .value_kind:     hidden_block_count_y
      - .offset:         32
        .size:           4
        .value_kind:     hidden_block_count_z
      - .offset:         36
        .size:           2
        .value_kind:     hidden_group_size_x
      - .offset:         38
        .size:           2
        .value_kind:     hidden_group_size_y
      - .offset:         40
        .size:           2
        .value_kind:     hidden_group_size_z
      - .offset:         42
        .size:           2
        .value_kind:     hidden_remainder_x
      - .offset:         44
        .size:           2
        .value_kind:     hidden_remainder_y
      - .offset:         46
        .size:           2
        .value_kind:     hidden_remainder_z
      - .offset:         64
        .size:           8
        .value_kind:     hidden_global_offset_x
      - .offset:         72
        .size:           8
        .value_kind:     hidden_global_offset_y
      - .offset:         80
        .size:           8
        .value_kind:     hidden_global_offset_z
      - .offset:         88
        .size:           2
        .value_kind:     hidden_grid_dims
    .group_segment_fixed_size: 976
    .kernarg_segment_align: 8
    .kernarg_segment_size: 280
    .language:       OpenCL C
    .language_version:
      - 2
      - 0
    .max_flat_workgroup_size: 256
    .name:           _Z28segmented_warp_reduce_kernelInhLj61ELj100EEvPKT_PT0_PS0_
    .private_segment_fixed_size: 0
    .sgpr_count:     16
    .sgpr_spill_count: 0
    .symbol:         _Z28segmented_warp_reduce_kernelInhLj61ELj100EEvPKT_PT0_PS0_.kd
    .uniform_work_group_size: 1
    .uses_dynamic_stack: false
    .vgpr_count:     22
    .vgpr_spill_count: 0
    .wavefront_size: 64
  - .agpr_count:     0
    .args:
      - .address_space:  global
        .offset:         0
        .size:           8
        .value_kind:     global_buffer
      - .address_space:  global
        .offset:         8
        .size:           8
        .value_kind:     global_buffer
      - .address_space:  global
        .offset:         16
        .size:           8
        .value_kind:     global_buffer
      - .offset:         24
        .size:           4
        .value_kind:     hidden_block_count_x
      - .offset:         28
        .size:           4
        .value_kind:     hidden_block_count_y
      - .offset:         32
        .size:           4
        .value_kind:     hidden_block_count_z
      - .offset:         36
        .size:           2
        .value_kind:     hidden_group_size_x
      - .offset:         38
        .size:           2
        .value_kind:     hidden_group_size_y
      - .offset:         40
        .size:           2
        .value_kind:     hidden_group_size_z
      - .offset:         42
        .size:           2
        .value_kind:     hidden_remainder_x
      - .offset:         44
        .size:           2
        .value_kind:     hidden_remainder_y
      - .offset:         46
        .size:           2
        .value_kind:     hidden_remainder_z
      - .offset:         64
        .size:           8
        .value_kind:     hidden_global_offset_x
      - .offset:         72
        .size:           8
        .value_kind:     hidden_global_offset_y
      - .offset:         80
        .size:           8
        .value_kind:     hidden_global_offset_z
      - .offset:         88
        .size:           2
        .value_kind:     hidden_grid_dims
    .group_segment_fixed_size: 0
    .kernarg_segment_align: 8
    .kernarg_segment_size: 280
    .language:       OpenCL C
    .language_version:
      - 2
      - 0
    .max_flat_workgroup_size: 256
    .name:           _Z28segmented_warp_reduce_kernelInhLj64ELj100EEvPKT_PT0_PS0_
    .private_segment_fixed_size: 0
    .sgpr_count:     16
    .sgpr_spill_count: 0
    .symbol:         _Z28segmented_warp_reduce_kernelInhLj64ELj100EEvPKT_PT0_PS0_.kd
    .uniform_work_group_size: 1
    .uses_dynamic_stack: false
    .vgpr_count:     28
    .vgpr_spill_count: 0
    .wavefront_size: 64
  - .agpr_count:     0
    .args:
      - .address_space:  global
        .offset:         0
        .size:           8
        .value_kind:     global_buffer
      - .address_space:  global
        .offset:         8
        .size:           8
        .value_kind:     global_buffer
      - .address_space:  global
        .offset:         16
        .size:           8
        .value_kind:     global_buffer
      - .offset:         24
        .size:           4
        .value_kind:     hidden_block_count_x
      - .offset:         28
        .size:           4
        .value_kind:     hidden_block_count_y
      - .offset:         32
        .size:           4
        .value_kind:     hidden_block_count_z
      - .offset:         36
        .size:           2
        .value_kind:     hidden_group_size_x
      - .offset:         38
        .size:           2
        .value_kind:     hidden_group_size_y
      - .offset:         40
        .size:           2
        .value_kind:     hidden_group_size_z
      - .offset:         42
        .size:           2
        .value_kind:     hidden_remainder_x
      - .offset:         44
        .size:           2
        .value_kind:     hidden_remainder_y
      - .offset:         46
        .size:           2
        .value_kind:     hidden_remainder_z
      - .offset:         64
        .size:           8
        .value_kind:     hidden_global_offset_x
      - .offset:         72
        .size:           8
        .value_kind:     hidden_global_offset_y
      - .offset:         80
        .size:           8
        .value_kind:     hidden_global_offset_z
      - .offset:         88
        .size:           2
        .value_kind:     hidden_grid_dims
    .group_segment_fixed_size: 0
    .kernarg_segment_align: 8
    .kernarg_segment_size: 280
    .language:       OpenCL C
    .language_version:
      - 2
      - 0
    .max_flat_workgroup_size: 256
    .name:           _Z28segmented_warp_reduce_kernelIohLj32ELj100EEvPKT_PT0_PS0_
    .private_segment_fixed_size: 0
    .sgpr_count:     16
    .sgpr_spill_count: 0
    .symbol:         _Z28segmented_warp_reduce_kernelIohLj32ELj100EEvPKT_PT0_PS0_.kd
    .uniform_work_group_size: 1
    .uses_dynamic_stack: false
    .vgpr_count:     27
    .vgpr_spill_count: 0
    .wavefront_size: 64
  - .agpr_count:     0
    .args:
      - .address_space:  global
        .offset:         0
        .size:           8
        .value_kind:     global_buffer
      - .address_space:  global
        .offset:         8
        .size:           8
        .value_kind:     global_buffer
      - .address_space:  global
        .offset:         16
        .size:           8
        .value_kind:     global_buffer
      - .offset:         24
        .size:           4
        .value_kind:     hidden_block_count_x
      - .offset:         28
        .size:           4
        .value_kind:     hidden_block_count_y
      - .offset:         32
        .size:           4
        .value_kind:     hidden_block_count_z
      - .offset:         36
        .size:           2
        .value_kind:     hidden_group_size_x
      - .offset:         38
        .size:           2
        .value_kind:     hidden_group_size_y
      - .offset:         40
        .size:           2
        .value_kind:     hidden_group_size_z
      - .offset:         42
        .size:           2
        .value_kind:     hidden_remainder_x
      - .offset:         44
        .size:           2
        .value_kind:     hidden_remainder_y
      - .offset:         46
        .size:           2
        .value_kind:     hidden_remainder_z
      - .offset:         64
        .size:           8
        .value_kind:     hidden_global_offset_x
      - .offset:         72
        .size:           8
        .value_kind:     hidden_global_offset_y
      - .offset:         80
        .size:           8
        .value_kind:     hidden_global_offset_z
      - .offset:         88
        .size:           2
        .value_kind:     hidden_grid_dims
    .group_segment_fixed_size: 592
    .kernarg_segment_align: 8
    .kernarg_segment_size: 280
    .language:       OpenCL C
    .language_version:
      - 2
      - 0
    .max_flat_workgroup_size: 256
    .name:           _Z28segmented_warp_reduce_kernelIohLj37ELj100EEvPKT_PT0_PS0_
    .private_segment_fixed_size: 0
    .sgpr_count:     16
    .sgpr_spill_count: 0
    .symbol:         _Z28segmented_warp_reduce_kernelIohLj37ELj100EEvPKT_PT0_PS0_.kd
    .uniform_work_group_size: 1
    .uses_dynamic_stack: false
    .vgpr_count:     22
    .vgpr_spill_count: 0
    .wavefront_size: 64
  - .agpr_count:     0
    .args:
      - .address_space:  global
        .offset:         0
        .size:           8
        .value_kind:     global_buffer
      - .address_space:  global
        .offset:         8
        .size:           8
        .value_kind:     global_buffer
      - .address_space:  global
        .offset:         16
        .size:           8
        .value_kind:     global_buffer
      - .offset:         24
        .size:           4
        .value_kind:     hidden_block_count_x
      - .offset:         28
        .size:           4
        .value_kind:     hidden_block_count_y
      - .offset:         32
        .size:           4
        .value_kind:     hidden_block_count_z
      - .offset:         36
        .size:           2
        .value_kind:     hidden_group_size_x
      - .offset:         38
        .size:           2
        .value_kind:     hidden_group_size_y
      - .offset:         40
        .size:           2
        .value_kind:     hidden_group_size_z
      - .offset:         42
        .size:           2
        .value_kind:     hidden_remainder_x
      - .offset:         44
        .size:           2
        .value_kind:     hidden_remainder_y
      - .offset:         46
        .size:           2
        .value_kind:     hidden_remainder_z
      - .offset:         64
        .size:           8
        .value_kind:     hidden_global_offset_x
      - .offset:         72
        .size:           8
        .value_kind:     hidden_global_offset_y
      - .offset:         80
        .size:           8
        .value_kind:     hidden_global_offset_z
      - .offset:         88
        .size:           2
        .value_kind:     hidden_grid_dims
    .group_segment_fixed_size: 976
    .kernarg_segment_align: 8
    .kernarg_segment_size: 280
    .language:       OpenCL C
    .language_version:
      - 2
      - 0
    .max_flat_workgroup_size: 256
    .name:           _Z28segmented_warp_reduce_kernelIohLj61ELj100EEvPKT_PT0_PS0_
    .private_segment_fixed_size: 0
    .sgpr_count:     16
    .sgpr_spill_count: 0
    .symbol:         _Z28segmented_warp_reduce_kernelIohLj61ELj100EEvPKT_PT0_PS0_.kd
    .uniform_work_group_size: 1
    .uses_dynamic_stack: false
    .vgpr_count:     22
    .vgpr_spill_count: 0
    .wavefront_size: 64
  - .agpr_count:     0
    .args:
      - .address_space:  global
        .offset:         0
        .size:           8
        .value_kind:     global_buffer
      - .address_space:  global
        .offset:         8
        .size:           8
        .value_kind:     global_buffer
      - .address_space:  global
        .offset:         16
        .size:           8
        .value_kind:     global_buffer
      - .offset:         24
        .size:           4
        .value_kind:     hidden_block_count_x
      - .offset:         28
        .size:           4
        .value_kind:     hidden_block_count_y
      - .offset:         32
        .size:           4
        .value_kind:     hidden_block_count_z
      - .offset:         36
        .size:           2
        .value_kind:     hidden_group_size_x
      - .offset:         38
        .size:           2
        .value_kind:     hidden_group_size_y
      - .offset:         40
        .size:           2
        .value_kind:     hidden_group_size_z
      - .offset:         42
        .size:           2
        .value_kind:     hidden_remainder_x
      - .offset:         44
        .size:           2
        .value_kind:     hidden_remainder_y
      - .offset:         46
        .size:           2
        .value_kind:     hidden_remainder_z
      - .offset:         64
        .size:           8
        .value_kind:     hidden_global_offset_x
      - .offset:         72
        .size:           8
        .value_kind:     hidden_global_offset_y
      - .offset:         80
        .size:           8
        .value_kind:     hidden_global_offset_z
      - .offset:         88
        .size:           2
        .value_kind:     hidden_grid_dims
    .group_segment_fixed_size: 0
    .kernarg_segment_align: 8
    .kernarg_segment_size: 280
    .language:       OpenCL C
    .language_version:
      - 2
      - 0
    .max_flat_workgroup_size: 256
    .name:           _Z28segmented_warp_reduce_kernelIohLj64ELj100EEvPKT_PT0_PS0_
    .private_segment_fixed_size: 0
    .sgpr_count:     16
    .sgpr_spill_count: 0
    .symbol:         _Z28segmented_warp_reduce_kernelIohLj64ELj100EEvPKT_PT0_PS0_.kd
    .uniform_work_group_size: 1
    .uses_dynamic_stack: false
    .vgpr_count:     28
    .vgpr_spill_count: 0
    .wavefront_size: 64
amdhsa.target:   amdgcn-amd-amdhsa--gfx90a
amdhsa.version:
  - 1
  - 2
...

	.end_amdgpu_metadata
